;; amdgpu-corpus repo=ROCm/rocFFT kind=compiled arch=gfx906 opt=O3
	.text
	.amdgcn_target "amdgcn-amd-amdhsa--gfx906"
	.amdhsa_code_object_version 6
	.protected	bluestein_single_fwd_len2400_dim1_half_op_CI_CI ; -- Begin function bluestein_single_fwd_len2400_dim1_half_op_CI_CI
	.globl	bluestein_single_fwd_len2400_dim1_half_op_CI_CI
	.p2align	8
	.type	bluestein_single_fwd_len2400_dim1_half_op_CI_CI,@function
bluestein_single_fwd_len2400_dim1_half_op_CI_CI: ; @bluestein_single_fwd_len2400_dim1_half_op_CI_CI
; %bb.0:
	s_load_dwordx4 s[8:11], s[4:5], 0x28
	v_mul_u32_u24_e32 v1, 0x112, v0
	v_add_u32_sdwa v27, s6, v1 dst_sel:DWORD dst_unused:UNUSED_PAD src0_sel:DWORD src1_sel:WORD_1
	v_mov_b32_e32 v28, 0
	s_waitcnt lgkmcnt(0)
	v_cmp_gt_u64_e32 vcc, s[8:9], v[27:28]
	s_and_saveexec_b64 s[0:1], vcc
	s_cbranch_execz .LBB0_25
; %bb.1:
	s_load_dwordx4 s[12:15], s[4:5], 0x18
	s_load_dwordx2 s[16:17], s[4:5], 0x0
	s_movk_i32 s6, 0xf0
	v_mul_lo_u16_sdwa v1, v1, s6 dst_sel:DWORD dst_unused:UNUSED_PAD src0_sel:WORD_1 src1_sel:DWORD
	v_sub_u16_e32 v43, v0, v1
	s_waitcnt lgkmcnt(0)
	s_load_dwordx4 s[0:3], s[12:13], 0x0
	v_lshlrev_b32_e32 v36, 2, v43
	global_load_dword v45, v36, s[16:17]
	global_load_dword v44, v36, s[16:17] offset:2400
	s_waitcnt lgkmcnt(0)
	v_mad_u64_u32 v[0:1], s[6:7], s2, v27, 0
	v_mad_u64_u32 v[2:3], s[6:7], s0, v43, 0
	s_mul_i32 s6, s1, 0x258
	s_mul_hi_u32 s7, s0, 0x258
	v_mad_u64_u32 v[4:5], s[2:3], s3, v27, v[1:2]
	s_add_i32 s7, s7, s6
	s_mul_i32 s6, s0, 0x258
	v_mad_u64_u32 v[5:6], s[2:3], s1, v43, v[3:4]
	v_mov_b32_e32 v1, v4
	v_lshlrev_b64 v[0:1], 2, v[0:1]
	v_mov_b32_e32 v6, s11
	v_mov_b32_e32 v3, v5
	v_add_co_u32_e32 v4, vcc, s10, v0
	v_addc_co_u32_e32 v5, vcc, v6, v1, vcc
	v_lshlrev_b64 v[0:1], 2, v[2:3]
	v_mov_b32_e32 v2, s17
	v_add_co_u32_e32 v0, vcc, v4, v0
	v_add_co_u32_e64 v25, s[2:3], s16, v36
	v_addc_co_u32_e32 v1, vcc, v5, v1, vcc
	v_addc_co_u32_e64 v26, vcc, 0, v2, s[2:3]
	s_lshl_b64 s[18:19], s[6:7], 2
	v_mov_b32_e32 v6, s19
	v_add_co_u32_e32 v2, vcc, s18, v0
	v_addc_co_u32_e32 v3, vcc, v1, v6, vcc
	v_add_co_u32_e32 v4, vcc, s18, v2
	v_addc_co_u32_e32 v5, vcc, v3, v6, vcc
	global_load_dword v7, v[0:1], off
	global_load_dword v8, v[2:3], off
	;; [unrolled: 1-line block ×3, first 2 shown]
	s_movk_i32 s6, 0x1000
	v_add_co_u32_e32 v0, vcc, s6, v25
	v_addc_co_u32_e32 v1, vcc, 0, v26, vcc
	global_load_dword v42, v[0:1], off offset:704
	v_add_co_u32_e32 v2, vcc, s18, v4
	v_addc_co_u32_e32 v3, vcc, v5, v6, vcc
	s_mul_hi_u32 s6, s0, 0xfffff9e8
	global_load_dword v4, v[2:3], off
	global_load_dword v41, v[0:1], off offset:3104
	s_mulk_i32 s1, 0xf9e8
	s_sub_i32 s6, s6, s0
	s_add_i32 s1, s6, s1
	s_mulk_i32 s0, 0xf9e8
	s_lshl_b64 s[20:21], s[0:1], 2
	v_mov_b32_e32 v5, s21
	v_add_co_u32_e32 v2, vcc, s20, v2
	v_addc_co_u32_e32 v3, vcc, v3, v5, vcc
	global_load_dword v5, v[2:3], off
	global_load_dword v39, v36, s[16:17] offset:3360
	global_load_dword v40, v36, s[16:17] offset:960
	v_add_co_u32_e32 v2, vcc, s18, v2
	v_addc_co_u32_e32 v3, vcc, v3, v6, vcc
	global_load_dword v10, v[2:3], off
	v_add_co_u32_e32 v2, vcc, s18, v2
	v_addc_co_u32_e32 v3, vcc, v3, v6, vcc
	global_load_dword v11, v[2:3], off
	global_load_dword v37, v[0:1], off offset:4064
	global_load_dword v38, v[0:1], off offset:1664
	v_add_co_u32_e32 v2, vcc, s18, v2
	v_addc_co_u32_e32 v3, vcc, v3, v6, vcc
	global_load_dword v6, v[2:3], off
	s_load_dwordx2 s[12:13], s[4:5], 0x38
	s_load_dwordx4 s[8:11], s[14:15], 0x0
	s_movk_i32 s0, 0x77
	v_cmp_lt_u16_e64 s[6:7], s0, v43
	s_movk_i32 s0, 0x78
	v_cmp_gt_u16_e64 s[0:1], s0, v43
	s_waitcnt vmcnt(13)
	v_lshrrev_b32_e32 v12, 16, v7
	v_mul_f16_sdwa v13, v45, v7 dst_sel:DWORD dst_unused:UNUSED_PAD src0_sel:WORD_1 src1_sel:DWORD
	v_mul_f16_sdwa v14, v45, v12 dst_sel:DWORD dst_unused:UNUSED_PAD src0_sel:WORD_1 src1_sel:DWORD
	v_fma_f16 v12, v45, v12, -v13
	s_waitcnt vmcnt(12)
	v_lshrrev_b32_e32 v13, 16, v8
	v_fma_f16 v7, v45, v7, v14
	v_mul_f16_sdwa v14, v44, v13 dst_sel:DWORD dst_unused:UNUSED_PAD src0_sel:WORD_1 src1_sel:DWORD
	v_pack_b32_f16 v7, v7, v12
	v_fma_f16 v12, v44, v8, v14
	v_mul_f16_sdwa v8, v44, v8 dst_sel:DWORD dst_unused:UNUSED_PAD src0_sel:WORD_1 src1_sel:DWORD
	v_fma_f16 v8, v44, v13, -v8
	v_pack_b32_f16 v8, v12, v8
	ds_write_b32 v36, v8 offset:2400
	s_waitcnt vmcnt(11)
	v_lshrrev_b32_e32 v8, 16, v9
	s_waitcnt vmcnt(10)
	v_mul_f16_sdwa v12, v42, v8 dst_sel:DWORD dst_unused:UNUSED_PAD src0_sel:WORD_1 src1_sel:DWORD
	v_fma_f16 v12, v42, v9, v12
	v_mul_f16_sdwa v9, v42, v9 dst_sel:DWORD dst_unused:UNUSED_PAD src0_sel:WORD_1 src1_sel:DWORD
	v_fma_f16 v8, v42, v8, -v9
	v_pack_b32_f16 v8, v12, v8
	ds_write_b32 v36, v8 offset:4800
	s_waitcnt vmcnt(9)
	v_lshrrev_b32_e32 v8, 16, v4
	s_waitcnt vmcnt(8)
	v_mul_f16_sdwa v9, v41, v8 dst_sel:DWORD dst_unused:UNUSED_PAD src0_sel:WORD_1 src1_sel:DWORD
	;; [unrolled: 9-line block ×3, first 2 shown]
	v_fma_f16 v8, v40, v5, v8
	v_mul_f16_sdwa v5, v40, v5 dst_sel:DWORD dst_unused:UNUSED_PAD src0_sel:WORD_1 src1_sel:DWORD
	v_fma_f16 v4, v40, v4, -v5
	v_pack_b32_f16 v4, v8, v4
	ds_write2_b32 v36, v7, v4 offset1:240
	s_waitcnt vmcnt(4)
	v_lshrrev_b32_e32 v4, 16, v10
	v_mul_f16_sdwa v5, v39, v4 dst_sel:DWORD dst_unused:UNUSED_PAD src0_sel:WORD_1 src1_sel:DWORD
	v_mul_f16_sdwa v7, v39, v10 dst_sel:DWORD dst_unused:UNUSED_PAD src0_sel:WORD_1 src1_sel:DWORD
	v_fma_f16 v5, v39, v10, v5
	v_fma_f16 v4, v39, v4, -v7
	v_pack_b32_f16 v4, v5, v4
	ds_write_b32 v36, v4 offset:3360
	s_waitcnt vmcnt(3)
	v_lshrrev_b32_e32 v4, 16, v11
	s_waitcnt vmcnt(1)
	v_mul_f16_sdwa v5, v38, v4 dst_sel:DWORD dst_unused:UNUSED_PAD src0_sel:WORD_1 src1_sel:DWORD
	v_mul_f16_sdwa v7, v38, v11 dst_sel:DWORD dst_unused:UNUSED_PAD src0_sel:WORD_1 src1_sel:DWORD
	v_fma_f16 v5, v38, v11, v5
	v_fma_f16 v4, v38, v4, -v7
	v_pack_b32_f16 v4, v5, v4
	ds_write_b32 v36, v4 offset:5760
	s_waitcnt vmcnt(0)
	v_lshrrev_b32_e32 v4, 16, v6
	v_mul_f16_sdwa v5, v37, v4 dst_sel:DWORD dst_unused:UNUSED_PAD src0_sel:WORD_1 src1_sel:DWORD
	v_fma_f16 v5, v37, v6, v5
	v_mul_f16_sdwa v6, v37, v6 dst_sel:DWORD dst_unused:UNUSED_PAD src0_sel:WORD_1 src1_sel:DWORD
	v_fma_f16 v4, v37, v4, -v6
	v_pack_b32_f16 v4, v5, v4
	ds_write_b32 v36, v4 offset:8160
	s_and_saveexec_b64 s[14:15], s[0:1]
	s_cbranch_execz .LBB0_3
; %bb.2:
	v_mov_b32_e32 v4, s21
	v_add_co_u32_e32 v2, vcc, s20, v2
	v_addc_co_u32_e32 v3, vcc, v3, v4, vcc
	global_load_dword v4, v[2:3], off
	global_load_dword v5, v[25:26], off offset:1920
	v_mov_b32_e32 v6, s19
	v_add_co_u32_e32 v2, vcc, s18, v2
	v_addc_co_u32_e32 v3, vcc, v3, v6, vcc
	global_load_dword v7, v[2:3], off
	v_add_co_u32_e32 v2, vcc, s18, v2
	v_addc_co_u32_e32 v3, vcc, v3, v6, vcc
	global_load_dword v8, v[2:3], off
	global_load_dword v9, v[0:1], off offset:224
	global_load_dword v10, v[0:1], off offset:2624
	v_add_co_u32_e32 v0, vcc, s18, v2
	v_addc_co_u32_e32 v1, vcc, v3, v6, vcc
	global_load_dword v2, v[0:1], off
	v_add_co_u32_e32 v0, vcc, 0x2000, v25
	v_addc_co_u32_e32 v1, vcc, 0, v26, vcc
	global_load_dword v0, v[0:1], off offset:928
	s_waitcnt vmcnt(7)
	v_lshrrev_b32_e32 v1, 16, v4
	s_waitcnt vmcnt(6)
	v_mul_f16_sdwa v3, v5, v4 dst_sel:DWORD dst_unused:UNUSED_PAD src0_sel:WORD_1 src1_sel:DWORD
	v_mul_f16_sdwa v6, v5, v1 dst_sel:DWORD dst_unused:UNUSED_PAD src0_sel:WORD_1 src1_sel:DWORD
	v_fma_f16 v1, v5, v1, -v3
	v_fma_f16 v4, v5, v4, v6
	v_pack_b32_f16 v1, v4, v1
	ds_write_b32 v36, v1 offset:1920
	s_waitcnt vmcnt(5)
	v_lshrrev_b32_e32 v3, 16, v7
	s_waitcnt vmcnt(4)
	v_lshrrev_b32_e32 v6, 16, v8
	s_waitcnt vmcnt(3)
	v_mul_f16_sdwa v11, v9, v7 dst_sel:DWORD dst_unused:UNUSED_PAD src0_sel:WORD_1 src1_sel:DWORD
	v_mul_f16_sdwa v5, v9, v3 dst_sel:DWORD dst_unused:UNUSED_PAD src0_sel:WORD_1 src1_sel:DWORD
	v_fma_f16 v3, v9, v3, -v11
	v_fma_f16 v4, v9, v7, v5
	s_waitcnt vmcnt(2)
	v_mul_f16_sdwa v11, v10, v8 dst_sel:DWORD dst_unused:UNUSED_PAD src0_sel:WORD_1 src1_sel:DWORD
	v_mul_f16_sdwa v5, v10, v6 dst_sel:DWORD dst_unused:UNUSED_PAD src0_sel:WORD_1 src1_sel:DWORD
	s_waitcnt vmcnt(1)
	v_lshrrev_b32_e32 v7, 16, v2
	v_pack_b32_f16 v1, v4, v3
	v_fma_f16 v6, v10, v6, -v11
	v_fma_f16 v3, v10, v8, v5
	ds_write_b32 v36, v1 offset:4320
	s_waitcnt vmcnt(0)
	v_mul_f16_sdwa v9, v0, v2 dst_sel:DWORD dst_unused:UNUSED_PAD src0_sel:WORD_1 src1_sel:DWORD
	v_mul_f16_sdwa v4, v0, v7 dst_sel:DWORD dst_unused:UNUSED_PAD src0_sel:WORD_1 src1_sel:DWORD
	v_fma_f16 v5, v0, v7, -v9
	v_fma_f16 v0, v0, v2, v4
	v_pack_b32_f16 v1, v3, v6
	v_pack_b32_f16 v0, v0, v5
	ds_write_b32 v36, v1 offset:6720
	ds_write_b32 v36, v0 offset:9120
.LBB0_3:
	s_or_b64 exec, exec, s[14:15]
	v_add_u32_e32 v2, 0x940, v36
	v_add_u32_e32 v4, 0x12c0, v36
	;; [unrolled: 1-line block ×3, first 2 shown]
	s_waitcnt lgkmcnt(0)
	s_barrier
	ds_read2_b32 v[0:1], v36 offset1:240
	ds_read2_b32 v[2:3], v2 offset0:8 offset1:248
	ds_read2_b32 v[4:5], v4 offset1:240
	ds_read2_b32 v[6:7], v6 offset0:8 offset1:248
                                        ; implicit-def: $vgpr9
                                        ; implicit-def: $vgpr11
                                        ; implicit-def: $vgpr10
                                        ; implicit-def: $vgpr12
	s_and_saveexec_b64 s[14:15], s[0:1]
	s_cbranch_execz .LBB0_5
; %bb.4:
	ds_read_b32 v9, v36 offset:1920
	ds_read_b32 v10, v36 offset:4320
	;; [unrolled: 1-line block ×4, first 2 shown]
.LBB0_5:
	s_or_b64 exec, exec, s[14:15]
	s_waitcnt lgkmcnt(1)
	v_pk_add_f16 v13, v0, v4 neg_lo:[0,1] neg_hi:[0,1]
	s_waitcnt lgkmcnt(0)
	v_pk_add_f16 v14, v2, v6 neg_lo:[0,1] neg_hi:[0,1]
	v_lshrrev_b32_e32 v4, 16, v13
	v_add_f16_e32 v16, v4, v14
	v_pk_add_f16 v20, v1, v5 neg_lo:[0,1] neg_hi:[0,1]
	v_fma_f16 v19, v4, 2.0, -v16
	v_pk_add_f16 v21, v3, v7 neg_lo:[0,1] neg_hi:[0,1]
	v_lshrrev_b32_e32 v4, 16, v20
	s_load_dwordx2 s[14:15], s[4:5], 0x8
	v_add_f16_e32 v23, v4, v21
	v_pk_add_f16 v5, v9, v11 neg_lo:[0,1] neg_hi:[0,1]
	v_pk_fma_f16 v0, v0, 2.0, v13 op_sel_hi:[1,0,1] neg_lo:[0,0,1] neg_hi:[0,0,1]
	v_pk_fma_f16 v2, v2, 2.0, v14 op_sel_hi:[1,0,1] neg_lo:[0,0,1] neg_hi:[0,0,1]
	v_fma_f16 v29, v4, 2.0, -v23
	v_pk_fma_f16 v4, v9, 2.0, v5 op_sel_hi:[1,0,1] neg_lo:[0,0,1] neg_hi:[0,0,1]
	v_lshlrev_b16_e32 v9, 2, v43
	v_pk_add_f16 v11, v0, v2 neg_lo:[0,1] neg_hi:[0,1]
	v_sub_f16_sdwa v15, v13, v14 dst_sel:DWORD dst_unused:UNUSED_PAD src0_sel:DWORD src1_sel:WORD_1
	v_sub_f16_sdwa v22, v20, v21 dst_sel:DWORD dst_unused:UNUSED_PAD src0_sel:DWORD src1_sel:WORD_1
	v_pk_add_f16 v6, v10, v12 neg_lo:[0,1] neg_hi:[0,1]
	v_lshlrev_b32_e32 v46, 2, v9
	v_pk_fma_f16 v9, v0, 2.0, v11 op_sel_hi:[1,0,1] neg_lo:[0,0,1] neg_hi:[0,0,1]
	v_pk_fma_f16 v0, v1, 2.0, v20 op_sel_hi:[1,0,1] neg_lo:[0,0,1] neg_hi:[0,0,1]
	;; [unrolled: 1-line block ×3, first 2 shown]
	v_add_co_u32_e32 v18, vcc, 0xf0, v43
	s_movk_i32 s4, 0x1e0
	v_fma_f16 v17, v13, 2.0, -v15
	v_fma_f16 v24, v20, 2.0, -v22
	v_pk_fma_f16 v7, v10, 2.0, v6 op_sel_hi:[1,0,1] neg_lo:[0,0,1] neg_hi:[0,0,1]
	v_pk_add_f16 v28, v5, v6 op_sel:[0,1] op_sel_hi:[1,0] neg_lo:[0,1] neg_hi:[0,1]
	v_pk_add_f16 v6, v5, v6 op_sel:[0,1] op_sel_hi:[1,0]
	v_pk_add_f16 v2, v0, v1 neg_lo:[0,1] neg_hi:[0,1]
	v_add_co_u32_e32 v8, vcc, s4, v43
	v_pack_b32_f16 v12, v15, v16
	v_pack_b32_f16 v10, v17, v19
	v_lshlrev_b32_e32 v47, 4, v18
	v_pk_fma_f16 v0, v0, 2.0, v2 op_sel_hi:[1,0,1] neg_lo:[0,0,1] neg_hi:[0,0,1]
	v_pack_b32_f16 v3, v22, v23
	v_pack_b32_f16 v1, v24, v29
	v_lshrrev_b32_e32 v29, 16, v6
	s_waitcnt lgkmcnt(0)
	s_barrier
	ds_write_b128 v46, v[9:12]
	ds_write_b128 v47, v[0:3]
	s_and_saveexec_b64 s[4:5], s[6:7]
	s_xor_b64 s[4:5], exec, s[4:5]
; %bb.6:
                                        ; implicit-def: $vgpr6
                                        ; implicit-def: $vgpr5
; %bb.7:
	s_or_saveexec_b64 s[4:5], s[4:5]
	v_pk_add_f16 v16, v4, v7 neg_lo:[0,1] neg_hi:[0,1]
	v_lshlrev_b32_e32 v48, 4, v8
	s_xor_b64 exec, exec, s[4:5]
	s_cbranch_execz .LBB0_9
; %bb.8:
	s_mov_b32 s6, 0xffff
	v_bfi_b32 v17, s6, v28, v6
	v_pk_fma_f16 v14, v4, 2.0, v16 op_sel_hi:[1,0,1] neg_lo:[0,0,1] neg_hi:[0,0,1]
	v_pk_fma_f16 v15, v5, 2.0, v17 op_sel_hi:[1,0,1] neg_lo:[0,0,1] neg_hi:[0,0,1]
	ds_write_b128 v48, v[14:17]
.LBB0_9:
	s_or_b64 exec, exec, s[4:5]
	v_and_b32_e32 v8, 3, v43
	v_mad_u64_u32 v[9:10], s[4:5], v8, 36, s[14:15]
	s_waitcnt lgkmcnt(0)
	s_barrier
	global_load_dwordx4 v[0:3], v[9:10], off
	global_load_dwordx4 v[4:7], v[9:10], off offset:16
	global_load_dword v49, v[9:10], off offset:32
	v_add_u32_e32 v21, 0x780, v36
	ds_read2_b32 v[9:10], v36 offset1:240
	v_add_u32_e32 v20, 0xf00, v36
	v_add_u32_e32 v19, 0x1680, v36
	;; [unrolled: 1-line block ×3, first 2 shown]
	ds_read2_b32 v[11:12], v21 offset1:240
	ds_read2_b32 v[13:14], v20 offset1:240
	;; [unrolled: 1-line block ×4, first 2 shown]
	s_waitcnt lgkmcnt(4)
	v_lshrrev_b32_e32 v24, 16, v10
	s_waitcnt lgkmcnt(3)
	v_lshrrev_b32_e32 v32, 16, v11
	s_waitcnt lgkmcnt(2)
	v_lshrrev_b32_e32 v34, 16, v13
	s_waitcnt lgkmcnt(1)
	v_lshrrev_b32_e32 v50, 16, v22
	s_waitcnt lgkmcnt(0)
	v_lshrrev_b32_e32 v52, 16, v30
	v_lshrrev_b32_e32 v33, 16, v12
	s_movk_i32 s7, 0x3b9c
	s_mov_b32 s5, 0xbb9c
	s_movk_i32 s16, 0x38b4
	s_mov_b32 s4, 0xb8b4
	v_lshrrev_b32_e32 v15, 16, v9
	v_lshrrev_b32_e32 v35, 16, v14
	s_movk_i32 s6, 0x34f2
	v_lshrrev_b32_e32 v51, 16, v23
	v_lshrrev_b32_e32 v53, 16, v31
	s_movk_i32 s18, 0x3a79
	s_waitcnt vmcnt(0)
	s_barrier
	s_movk_i32 s19, 0xcd
	v_mul_f16_sdwa v60, v34, v3 dst_sel:DWORD dst_unused:UNUSED_PAD src0_sel:DWORD src1_sel:WORD_1
	v_mul_f16_sdwa v64, v50, v5 dst_sel:DWORD dst_unused:UNUSED_PAD src0_sel:DWORD src1_sel:WORD_1
	;; [unrolled: 1-line block ×9, first 2 shown]
	v_fma_f16 v13, v13, v3, -v60
	v_fma_f16 v22, v22, v5, -v64
	v_mul_f16_sdwa v54, v24, v0 dst_sel:DWORD dst_unused:UNUSED_PAD src0_sel:DWORD src1_sel:WORD_1
	v_mul_f16_sdwa v58, v33, v2 dst_sel:DWORD dst_unused:UNUSED_PAD src0_sel:DWORD src1_sel:WORD_1
	;; [unrolled: 1-line block ×3, first 2 shown]
	v_fma_f16 v24, v24, v0, v55
	v_fma_f16 v11, v11, v1, -v56
	v_fma_f16 v32, v32, v1, v57
	v_fma_f16 v30, v30, v7, -v68
	v_fma_f16 v52, v52, v7, v69
	v_add_f16_e32 v55, v13, v22
	v_fma_f16 v12, v12, v2, -v58
	v_fma_f16 v33, v33, v2, v59
	v_fma_f16 v34, v34, v3, v61
	;; [unrolled: 1-line block ×3, first 2 shown]
	v_sub_f16_e32 v56, v32, v52
	v_sub_f16_e32 v58, v11, v13
	;; [unrolled: 1-line block ×3, first 2 shown]
	v_add_f16_e32 v60, v11, v30
	v_fma_f16 v55, v55, -0.5, v9
	v_fma_f16 v10, v10, v0, -v54
	v_add_f16_e32 v54, v9, v11
	v_sub_f16_e32 v57, v34, v50
	v_add_f16_e32 v58, v58, v59
	v_fma_f16 v9, v60, -0.5, v9
	v_fma_f16 v59, v56, s7, v55
	v_fma_f16 v55, v56, s5, v55
	v_mul_f16_sdwa v62, v35, v4 dst_sel:DWORD dst_unused:UNUSED_PAD src0_sel:DWORD src1_sel:WORD_1
	v_add_f16_e32 v54, v54, v13
	v_fma_f16 v60, v57, s5, v9
	v_fma_f16 v59, v57, s16, v59
	;; [unrolled: 1-line block ×4, first 2 shown]
	v_add_f16_e32 v57, v34, v50
	v_mul_f16_sdwa v63, v14, v4 dst_sel:DWORD dst_unused:UNUSED_PAD src0_sel:DWORD src1_sel:WORD_1
	v_fma_f16 v14, v14, v4, -v62
	v_sub_f16_e32 v61, v13, v11
	v_sub_f16_e32 v62, v22, v30
	v_add_f16_e32 v54, v54, v22
	v_fma_f16 v57, v57, -0.5, v15
	v_sub_f16_e32 v11, v11, v30
	v_add_f16_e32 v54, v54, v30
	v_fma_f16 v60, v56, s16, v60
	v_fma_f16 v59, v58, s6, v59
	;; [unrolled: 1-line block ×3, first 2 shown]
	v_add_f16_e32 v58, v61, v62
	v_fma_f16 v9, v56, s4, v9
	v_fma_f16 v30, v11, s5, v57
	v_sub_f16_e32 v13, v13, v22
	v_fma_f16 v60, v58, s6, v60
	v_fma_f16 v9, v58, s6, v9
	v_fma_f16 v22, v13, s4, v30
	v_sub_f16_e32 v30, v32, v34
	v_sub_f16_e32 v58, v52, v50
	v_fma_f16 v57, v11, s7, v57
	v_add_f16_e32 v30, v30, v58
	v_fma_f16 v57, v13, s16, v57
	v_fma_f16 v22, v30, s6, v22
	;; [unrolled: 1-line block ×3, first 2 shown]
	v_add_f16_e32 v57, v32, v52
	v_mul_f16_sdwa v66, v51, v6 dst_sel:DWORD dst_unused:UNUSED_PAD src0_sel:DWORD src1_sel:WORD_1
	v_add_f16_e32 v56, v15, v32
	v_fma_f16 v15, v57, -0.5, v15
	v_mul_f16_sdwa v67, v23, v6 dst_sel:DWORD dst_unused:UNUSED_PAD src0_sel:DWORD src1_sel:WORD_1
	v_mul_f16_sdwa v71, v31, v49 dst_sel:DWORD dst_unused:UNUSED_PAD src0_sel:DWORD src1_sel:WORD_1
	v_fma_f16 v23, v23, v6, -v66
	v_add_f16_e32 v56, v56, v34
	v_fma_f16 v57, v13, s7, v15
	v_sub_f16_e32 v32, v34, v32
	v_sub_f16_e32 v34, v50, v52
	v_fma_f16 v13, v13, s5, v15
	v_mul_f16_sdwa v70, v53, v49 dst_sel:DWORD dst_unused:UNUSED_PAD src0_sel:DWORD src1_sel:WORD_1
	v_fma_f16 v53, v53, v49, v71
	v_fma_f16 v57, v11, s4, v57
	v_add_f16_e32 v32, v32, v34
	v_fma_f16 v11, v11, s16, v13
	v_add_f16_e32 v15, v14, v23
	v_fma_f16 v35, v35, v4, v63
	v_fma_f16 v51, v51, v6, v67
	v_fma_f16 v31, v31, v49, -v70
	v_add_f16_e32 v56, v56, v50
	v_fma_f16 v34, v32, s6, v57
	v_fma_f16 v11, v32, s6, v11
	v_fma_f16 v15, v15, -0.5, v10
	v_sub_f16_e32 v32, v33, v53
	v_add_f16_e32 v56, v56, v52
	v_fma_f16 v50, v32, s7, v15
	v_sub_f16_e32 v52, v35, v51
	v_sub_f16_e32 v57, v12, v14
	;; [unrolled: 1-line block ×3, first 2 shown]
	v_fma_f16 v15, v32, s5, v15
	v_fma_f16 v50, v52, s16, v50
	v_add_f16_e32 v57, v57, v58
	v_fma_f16 v15, v52, s4, v15
	v_fma_f16 v50, v57, s6, v50
	;; [unrolled: 1-line block ×3, first 2 shown]
	v_add_f16_e32 v57, v12, v31
	v_add_f16_e32 v13, v10, v12
	v_fma_f16 v10, v57, -0.5, v10
	v_add_f16_e32 v13, v13, v14
	v_fma_f16 v57, v52, s5, v10
	v_fma_f16 v10, v52, s7, v10
	v_add_f16_e32 v52, v35, v51
	v_add_f16_e32 v13, v13, v23
	v_sub_f16_e32 v58, v14, v12
	v_sub_f16_e32 v61, v23, v31
	v_fma_f16 v52, v52, -0.5, v24
	v_sub_f16_e32 v12, v12, v31
	v_add_f16_e32 v13, v13, v31
	v_fma_f16 v57, v32, s16, v57
	v_add_f16_e32 v58, v58, v61
	v_fma_f16 v10, v32, s4, v10
	v_fma_f16 v31, v12, s5, v52
	v_sub_f16_e32 v14, v14, v23
	v_fma_f16 v57, v58, s6, v57
	v_fma_f16 v10, v58, s6, v10
	v_fma_f16 v23, v14, s4, v31
	v_sub_f16_e32 v31, v33, v35
	v_sub_f16_e32 v58, v53, v51
	v_fma_f16 v52, v12, s7, v52
	v_add_f16_e32 v31, v31, v58
	v_fma_f16 v52, v14, s16, v52
	v_fma_f16 v23, v31, s6, v23
	v_fma_f16 v31, v31, s6, v52
	v_add_f16_e32 v52, v33, v53
	v_add_f16_e32 v32, v24, v33
	v_fma_f16 v24, v52, -0.5, v24
	v_add_f16_e32 v32, v32, v35
	v_fma_f16 v52, v14, s7, v24
	v_sub_f16_e32 v33, v35, v33
	v_sub_f16_e32 v35, v51, v53
	v_fma_f16 v14, v14, s5, v24
	v_add_f16_e32 v32, v32, v51
	v_fma_f16 v52, v12, s4, v52
	v_add_f16_e32 v33, v33, v35
	;; [unrolled: 2-line block ×3, first 2 shown]
	v_fma_f16 v12, v33, s6, v12
	v_mul_f16_e32 v53, 0x34f2, v10
	v_mul_f16_e32 v61, 0x3a79, v15
	v_fma_f16 v53, v12, s7, -v53
	v_fma_f16 v61, v31, s16, -v61
	v_mul_f16_e32 v12, 0x34f2, v12
	v_mul_f16_e32 v31, 0x3a79, v31
	;; [unrolled: 1-line block ×3, first 2 shown]
	v_fma_f16 v10, v10, s5, -v12
	v_fma_f16 v15, v15, s4, -v31
	v_fma_f16 v35, v33, s6, v52
	v_fma_f16 v24, v50, s18, v24
	v_mul_f16_e32 v50, 0xb8b4, v50
	v_add_f16_e32 v12, v11, v10
	v_add_f16_e32 v31, v30, v15
	v_sub_f16_e32 v10, v11, v10
	v_sub_f16_e32 v11, v30, v15
	v_lshrrev_b32_e32 v15, 2, v43
	v_mul_f16_e32 v51, 0x3b9c, v35
	v_fma_f16 v23, v23, s18, v50
	v_mul_f16_e32 v50, 0xbb9c, v57
	v_mul_u32_u24_e32 v15, 40, v15
	v_add_f16_e32 v14, v54, v13
	v_add_f16_e32 v33, v59, v24
	v_fma_f16 v51, v57, s6, v51
	v_add_f16_e32 v63, v56, v32
	v_add_f16_e32 v64, v22, v23
	v_fma_f16 v35, v35, s6, v50
	v_or_b32_e32 v8, v15, v8
	v_add_f16_e32 v52, v60, v51
	v_add_f16_e32 v58, v9, v53
	;; [unrolled: 1-line block ×3, first 2 shown]
	v_lshlrev_b32_e32 v50, 2, v8
	v_pack_b32_f16 v8, v14, v63
	v_pack_b32_f16 v14, v33, v64
	v_add_f16_e32 v62, v55, v61
	v_sub_f16_e32 v13, v54, v13
	v_sub_f16_e32 v32, v56, v32
	ds_write2_b32 v50, v8, v14 offset1:4
	v_pack_b32_f16 v8, v52, v57
	v_pack_b32_f16 v12, v58, v12
	v_sub_f16_e32 v24, v59, v24
	v_sub_f16_e32 v51, v60, v51
	;; [unrolled: 1-line block ×4, first 2 shown]
	ds_write2_b32 v50, v8, v12 offset0:8 offset1:12
	v_pack_b32_f16 v8, v62, v31
	v_pack_b32_f16 v12, v13, v32
	v_sub_f16_e32 v9, v9, v53
	v_sub_f16_e32 v53, v55, v61
	ds_write2_b32 v50, v8, v12 offset0:16 offset1:20
	v_pack_b32_f16 v8, v24, v22
	v_pack_b32_f16 v12, v51, v23
	ds_write2_b32 v50, v8, v12 offset0:24 offset1:28
	v_pack_b32_f16 v8, v9, v10
	v_pack_b32_f16 v9, v53, v11
	ds_write2_b32 v50, v8, v9 offset0:32 offset1:36
	v_mul_lo_u16_sdwa v8, v43, s19 dst_sel:DWORD dst_unused:UNUSED_PAD src0_sel:BYTE_0 src1_sel:DWORD
	v_lshrrev_b16_e32 v24, 13, v8
	v_mul_lo_u16_e32 v8, 40, v24
	v_sub_u16_e32 v8, v43, v8
	v_and_b32_e32 v52, 0xff, v8
	v_mad_u64_u32 v[22:23], s[20:21], v52, 36, s[14:15]
	s_waitcnt lgkmcnt(0)
	s_barrier
	global_load_dwordx4 v[8:11], v[22:23], off offset:144
	global_load_dwordx4 v[12:15], v[22:23], off offset:160
	global_load_dword v51, v[22:23], off offset:176
	ds_read2_b32 v[22:23], v36 offset1:240
	ds_read2_b32 v[30:31], v21 offset1:240
	;; [unrolled: 1-line block ×5, first 2 shown]
	s_waitcnt lgkmcnt(4)
	v_lshrrev_b32_e32 v54, 16, v23
	s_waitcnt lgkmcnt(3)
	v_lshrrev_b32_e32 v55, 16, v30
	v_lshrrev_b32_e32 v19, 16, v31
	s_waitcnt lgkmcnt(2)
	v_lshrrev_b32_e32 v17, 16, v20
	v_lshrrev_b32_e32 v56, 16, v21
	s_waitcnt lgkmcnt(1)
	v_lshrrev_b32_e32 v57, 16, v32
	v_lshrrev_b32_e32 v58, 16, v33
	s_waitcnt lgkmcnt(0)
	v_lshrrev_b32_e32 v59, 16, v34
	v_lshrrev_b32_e32 v60, 16, v35
	v_lshrrev_b32_e32 v53, 16, v22
	s_waitcnt vmcnt(0)
	s_barrier
	v_mul_f16_sdwa v61, v54, v8 dst_sel:DWORD dst_unused:UNUSED_PAD src0_sel:DWORD src1_sel:WORD_1
	v_fma_f16 v61, v23, v8, -v61
	v_mul_f16_sdwa v23, v23, v8 dst_sel:DWORD dst_unused:UNUSED_PAD src0_sel:DWORD src1_sel:WORD_1
	v_fma_f16 v23, v54, v8, v23
	v_mul_f16_sdwa v54, v55, v9 dst_sel:DWORD dst_unused:UNUSED_PAD src0_sel:DWORD src1_sel:WORD_1
	v_fma_f16 v54, v30, v9, -v54
	v_mul_f16_sdwa v30, v30, v9 dst_sel:DWORD dst_unused:UNUSED_PAD src0_sel:DWORD src1_sel:WORD_1
	v_fma_f16 v30, v55, v9, v30
	v_mul_f16_sdwa v55, v19, v10 dst_sel:DWORD dst_unused:UNUSED_PAD src0_sel:DWORD src1_sel:WORD_1
	v_fma_f16 v55, v31, v10, -v55
	v_mul_f16_sdwa v31, v31, v10 dst_sel:DWORD dst_unused:UNUSED_PAD src0_sel:DWORD src1_sel:WORD_1
	v_fma_f16 v19, v19, v10, v31
	v_mul_f16_sdwa v31, v17, v11 dst_sel:DWORD dst_unused:UNUSED_PAD src0_sel:DWORD src1_sel:WORD_1
	v_fma_f16 v31, v20, v11, -v31
	v_mul_f16_sdwa v20, v20, v11 dst_sel:DWORD dst_unused:UNUSED_PAD src0_sel:DWORD src1_sel:WORD_1
	v_fma_f16 v17, v17, v11, v20
	v_mul_f16_sdwa v20, v56, v12 dst_sel:DWORD dst_unused:UNUSED_PAD src0_sel:DWORD src1_sel:WORD_1
	v_fma_f16 v20, v21, v12, -v20
	v_mul_f16_sdwa v21, v21, v12 dst_sel:DWORD dst_unused:UNUSED_PAD src0_sel:DWORD src1_sel:WORD_1
	v_fma_f16 v21, v56, v12, v21
	v_mul_f16_sdwa v56, v57, v13 dst_sel:DWORD dst_unused:UNUSED_PAD src0_sel:DWORD src1_sel:WORD_1
	v_fma_f16 v56, v32, v13, -v56
	v_mul_f16_sdwa v32, v32, v13 dst_sel:DWORD dst_unused:UNUSED_PAD src0_sel:DWORD src1_sel:WORD_1
	v_fma_f16 v32, v57, v13, v32
	v_mul_f16_sdwa v57, v58, v14 dst_sel:DWORD dst_unused:UNUSED_PAD src0_sel:DWORD src1_sel:WORD_1
	v_fma_f16 v57, v33, v14, -v57
	v_mul_f16_sdwa v33, v33, v14 dst_sel:DWORD dst_unused:UNUSED_PAD src0_sel:DWORD src1_sel:WORD_1
	v_fma_f16 v33, v58, v14, v33
	v_mul_f16_sdwa v58, v59, v15 dst_sel:DWORD dst_unused:UNUSED_PAD src0_sel:DWORD src1_sel:WORD_1
	v_fma_f16 v58, v34, v15, -v58
	v_mul_f16_sdwa v34, v34, v15 dst_sel:DWORD dst_unused:UNUSED_PAD src0_sel:DWORD src1_sel:WORD_1
	v_fma_f16 v34, v59, v15, v34
	v_add_f16_e32 v62, v31, v56
	v_fma_f16 v62, v62, -0.5, v22
	v_sub_f16_e32 v63, v30, v34
	v_fma_f16 v64, v63, s7, v62
	v_sub_f16_e32 v65, v17, v32
	v_sub_f16_e32 v66, v54, v31
	;; [unrolled: 1-line block ×3, first 2 shown]
	v_fma_f16 v62, v63, s5, v62
	v_mul_f16_sdwa v59, v60, v51 dst_sel:DWORD dst_unused:UNUSED_PAD src0_sel:DWORD src1_sel:WORD_1
	v_fma_f16 v64, v65, s16, v64
	v_add_f16_e32 v66, v66, v67
	v_fma_f16 v62, v65, s4, v62
	v_fma_f16 v59, v35, v51, -v59
	v_mul_f16_sdwa v35, v35, v51 dst_sel:DWORD dst_unused:UNUSED_PAD src0_sel:DWORD src1_sel:WORD_1
	v_fma_f16 v64, v66, s6, v64
	v_fma_f16 v62, v66, s6, v62
	v_add_f16_e32 v66, v54, v58
	v_fma_f16 v35, v60, v51, v35
	v_add_f16_e32 v60, v22, v54
	v_fma_f16 v22, v66, -0.5, v22
	v_add_f16_e32 v60, v60, v31
	v_fma_f16 v66, v65, s5, v22
	v_fma_f16 v22, v65, s7, v22
	v_add_f16_e32 v65, v17, v32
	v_add_f16_e32 v60, v60, v56
	v_sub_f16_e32 v67, v31, v54
	v_sub_f16_e32 v68, v56, v58
	v_fma_f16 v65, v65, -0.5, v53
	v_sub_f16_e32 v54, v54, v58
	v_add_f16_e32 v60, v60, v58
	v_fma_f16 v66, v63, s16, v66
	v_add_f16_e32 v67, v67, v68
	v_fma_f16 v22, v63, s4, v22
	v_fma_f16 v58, v54, s5, v65
	v_sub_f16_e32 v31, v31, v56
	v_fma_f16 v66, v67, s6, v66
	v_fma_f16 v22, v67, s6, v22
	;; [unrolled: 1-line block ×3, first 2 shown]
	v_sub_f16_e32 v58, v30, v17
	v_sub_f16_e32 v67, v34, v32
	v_fma_f16 v65, v54, s7, v65
	v_add_f16_e32 v58, v58, v67
	v_fma_f16 v65, v31, s16, v65
	v_add_f16_e32 v63, v53, v30
	v_fma_f16 v56, v58, s6, v56
	v_fma_f16 v58, v58, s6, v65
	v_add_f16_e32 v65, v30, v34
	v_add_f16_e32 v63, v63, v17
	v_fma_f16 v53, v65, -0.5, v53
	v_sub_f16_e32 v17, v17, v30
	v_sub_f16_e32 v30, v32, v34
	v_fma_f16 v65, v31, s7, v53
	v_add_f16_e32 v17, v17, v30
	v_fma_f16 v30, v31, s5, v53
	v_add_f16_e32 v31, v20, v57
	v_add_f16_e32 v63, v63, v32
	v_fma_f16 v31, v31, -0.5, v61
	v_sub_f16_e32 v32, v19, v35
	v_add_f16_e32 v63, v63, v34
	v_fma_f16 v65, v54, s4, v65
	v_fma_f16 v30, v54, s16, v30
	;; [unrolled: 1-line block ×3, first 2 shown]
	v_sub_f16_e32 v53, v21, v33
	v_sub_f16_e32 v54, v55, v20
	;; [unrolled: 1-line block ×3, first 2 shown]
	v_fma_f16 v31, v32, s5, v31
	v_fma_f16 v34, v53, s16, v34
	v_add_f16_e32 v54, v54, v67
	v_fma_f16 v31, v53, s4, v31
	v_fma_f16 v34, v54, s6, v34
	;; [unrolled: 1-line block ×3, first 2 shown]
	v_add_f16_e32 v54, v55, v59
	v_fma_f16 v65, v17, s6, v65
	v_fma_f16 v17, v17, s6, v30
	v_add_f16_e32 v30, v61, v55
	v_fma_f16 v54, v54, -0.5, v61
	v_add_f16_e32 v30, v30, v20
	v_fma_f16 v61, v53, s5, v54
	v_fma_f16 v53, v53, s7, v54
	v_add_f16_e32 v54, v21, v33
	v_add_f16_e32 v30, v30, v57
	v_sub_f16_e32 v67, v20, v55
	v_sub_f16_e32 v68, v57, v59
	v_fma_f16 v54, v54, -0.5, v23
	v_sub_f16_e32 v55, v55, v59
	v_add_f16_e32 v30, v30, v59
	v_fma_f16 v61, v32, s16, v61
	v_add_f16_e32 v67, v67, v68
	v_fma_f16 v32, v32, s4, v53
	v_fma_f16 v59, v55, s5, v54
	v_sub_f16_e32 v20, v20, v57
	v_fma_f16 v61, v67, s6, v61
	v_fma_f16 v32, v67, s6, v32
	;; [unrolled: 1-line block ×3, first 2 shown]
	v_sub_f16_e32 v59, v19, v21
	v_sub_f16_e32 v67, v35, v33
	v_fma_f16 v54, v55, s7, v54
	v_add_f16_e32 v59, v59, v67
	v_fma_f16 v54, v20, s16, v54
	v_fma_f16 v57, v59, s6, v57
	;; [unrolled: 1-line block ×3, first 2 shown]
	v_add_f16_e32 v59, v19, v35
	v_add_f16_e32 v53, v23, v19
	v_fma_f16 v23, v59, -0.5, v23
	v_add_f16_e32 v53, v53, v21
	v_fma_f16 v59, v20, s7, v23
	v_sub_f16_e32 v19, v21, v19
	v_sub_f16_e32 v21, v33, v35
	v_fma_f16 v20, v20, s5, v23
	v_add_f16_e32 v53, v53, v33
	v_fma_f16 v59, v55, s4, v59
	v_add_f16_e32 v19, v19, v21
	;; [unrolled: 2-line block ×3, first 2 shown]
	v_fma_f16 v21, v19, s6, v59
	v_fma_f16 v19, v19, s6, v20
	v_mul_f16_e32 v23, 0x38b4, v57
	v_mul_f16_e32 v35, 0x34f2, v32
	v_fma_f16 v23, v34, s18, v23
	v_fma_f16 v35, v19, s7, -v35
	v_mul_f16_e32 v34, 0xb8b4, v34
	v_mul_f16_e32 v19, 0x34f2, v19
	;; [unrolled: 1-line block ×4, first 2 shown]
	v_fma_f16 v57, v57, s18, v34
	v_mul_f16_e32 v34, 0xbb9c, v61
	v_fma_f16 v19, v32, s5, -v19
	v_add_f16_e32 v20, v60, v30
	v_add_f16_e32 v59, v64, v23
	v_fma_f16 v33, v61, s6, v33
	v_fma_f16 v55, v54, s16, -v55
	v_add_f16_e32 v70, v63, v53
	v_add_f16_e32 v71, v56, v57
	v_fma_f16 v21, v21, s6, v34
	v_add_f16_e32 v72, v17, v19
	v_mul_f16_e32 v32, 0x3a79, v54
	v_sub_f16_e32 v54, v17, v19
	v_mul_u32_u24_e32 v17, 0x190, v24
	v_add_f16_e32 v67, v66, v33
	v_add_f16_e32 v68, v22, v35
	;; [unrolled: 1-line block ×3, first 2 shown]
	v_fma_f16 v73, v31, s4, -v32
	v_add_lshl_u32 v52, v17, v52, 2
	v_pack_b32_f16 v17, v20, v70
	v_pack_b32_f16 v19, v59, v71
	v_add_f16_e32 v69, v62, v55
	v_add_f16_e32 v74, v58, v73
	v_sub_f16_e32 v60, v60, v30
	v_sub_f16_e32 v32, v66, v33
	;; [unrolled: 1-line block ×4, first 2 shown]
	ds_write2_b32 v52, v17, v19 offset1:40
	v_pack_b32_f16 v17, v67, v61
	v_pack_b32_f16 v19, v68, v72
	v_sub_f16_e32 v30, v64, v23
	v_sub_f16_e32 v34, v62, v55
	;; [unrolled: 1-line block ×4, first 2 shown]
	ds_write2_b32 v52, v17, v19 offset0:80 offset1:120
	v_pack_b32_f16 v17, v69, v74
	v_pack_b32_f16 v19, v60, v22
	v_sub_f16_e32 v35, v58, v73
	ds_write2_b32 v52, v17, v19 offset0:160 offset1:200
	v_pack_b32_f16 v17, v30, v31
	v_pack_b32_f16 v19, v32, v55
	v_add_u32_e32 v20, 0x200, v52
	ds_write2_b32 v20, v17, v19 offset0:112 offset1:152
	v_pack_b32_f16 v17, v33, v54
	v_pack_b32_f16 v19, v34, v35
	v_add_u32_e32 v20, 0x400, v52
	ds_write2_b32 v20, v17, v19 offset0:64 offset1:104
	s_waitcnt lgkmcnt(0)
	s_barrier
	ds_read_b32 v56, v36
	ds_read_b32 v57, v36 offset:1600
	ds_read_b32 v53, v36 offset:3200
	ds_read_b32 v20, v36 offset:4800
	ds_read_b32 v19, v36 offset:6400
	ds_read_b32 v17, v36 offset:8000
	s_movk_i32 s4, 0xa0
	v_cmp_gt_u16_e64 s[4:5], s4, v43
	s_and_saveexec_b64 s[6:7], s[4:5]
	s_cbranch_execz .LBB0_11
; %bb.10:
	ds_read_b32 v30, v36 offset:960
	ds_read_b32 v32, v36 offset:2560
	ds_read_b32 v33, v36 offset:4160
	ds_read_b32 v34, v36 offset:5760
	ds_read_b32 v16, v36 offset:7360
	ds_read_b32 v28, v36 offset:8960
	s_waitcnt lgkmcnt(5)
	v_lshrrev_b32_e32 v31, 16, v30
	s_waitcnt lgkmcnt(4)
	v_lshrrev_b32_e32 v55, 16, v32
	;; [unrolled: 2-line block ×5, first 2 shown]
.LBB0_11:
	s_or_b64 exec, exec, s[6:7]
	v_mad_u64_u32 v[58:59], s[6:7], v43, 20, s[14:15]
	s_waitcnt lgkmcnt(4)
	v_lshrrev_b32_e32 v61, 16, v57
	s_waitcnt lgkmcnt(3)
	v_lshrrev_b32_e32 v62, 16, v53
	global_load_dwordx4 v[21:24], v[58:59], off offset:1584
	s_waitcnt lgkmcnt(2)
	v_lshrrev_b32_e32 v63, 16, v20
	s_waitcnt lgkmcnt(1)
	v_lshrrev_b32_e32 v64, 16, v19
	;; [unrolled: 2-line block ×3, first 2 shown]
	v_lshrrev_b32_e32 v60, 16, v56
	s_movk_i32 s6, 0x3aee
	s_mov_b32 s7, 0xbaee
	s_waitcnt vmcnt(0)
	v_mul_f16_sdwa v66, v61, v21 dst_sel:DWORD dst_unused:UNUSED_PAD src0_sel:DWORD src1_sel:WORD_1
	v_fma_f16 v66, v57, v21, -v66
	v_mul_f16_sdwa v57, v57, v21 dst_sel:DWORD dst_unused:UNUSED_PAD src0_sel:DWORD src1_sel:WORD_1
	v_fma_f16 v61, v61, v21, v57
	v_mul_f16_sdwa v57, v62, v22 dst_sel:DWORD dst_unused:UNUSED_PAD src0_sel:DWORD src1_sel:WORD_1
	v_fma_f16 v67, v53, v22, -v57
	v_mul_f16_sdwa v53, v53, v22 dst_sel:DWORD dst_unused:UNUSED_PAD src0_sel:DWORD src1_sel:WORD_1
	v_fma_f16 v62, v62, v22, v53
	v_mul_f16_sdwa v53, v63, v23 dst_sel:DWORD dst_unused:UNUSED_PAD src0_sel:DWORD src1_sel:WORD_1
	v_fma_f16 v68, v20, v23, -v53
	global_load_dword v53, v[58:59], off offset:1600
	v_mul_f16_sdwa v20, v20, v23 dst_sel:DWORD dst_unused:UNUSED_PAD src0_sel:DWORD src1_sel:WORD_1
	v_fma_f16 v63, v63, v23, v20
	v_mul_f16_sdwa v20, v64, v24 dst_sel:DWORD dst_unused:UNUSED_PAD src0_sel:DWORD src1_sel:WORD_1
	v_fma_f16 v69, v19, v24, -v20
	v_mul_f16_sdwa v19, v19, v24 dst_sel:DWORD dst_unused:UNUSED_PAD src0_sel:DWORD src1_sel:WORD_1
	v_fma_f16 v64, v64, v24, v19
	s_waitcnt vmcnt(0)
	v_mul_f16_sdwa v19, v65, v53 dst_sel:DWORD dst_unused:UNUSED_PAD src0_sel:DWORD src1_sel:WORD_1
	v_fma_f16 v59, v17, v53, -v19
	v_mul_f16_sdwa v17, v17, v53 dst_sel:DWORD dst_unused:UNUSED_PAD src0_sel:DWORD src1_sel:WORD_1
	v_fma_f16 v65, v65, v53, v17
	v_add_u32_e32 v17, 0xffffff60, v43
	v_cndmask_b32_e64 v17, v17, v18, s[4:5]
	v_mul_hi_i32_i24_e32 v18, 20, v17
	v_mul_i32_i24_e32 v17, 20, v17
	v_add_co_u32_e32 v57, vcc, s14, v17
	v_mov_b32_e32 v17, s15
	v_addc_co_u32_e32 v58, vcc, v17, v18, vcc
	global_load_dwordx4 v[17:20], v[57:58], off offset:1584
	s_waitcnt vmcnt(0)
	v_mul_f16_sdwa v70, v55, v17 dst_sel:DWORD dst_unused:UNUSED_PAD src0_sel:DWORD src1_sel:WORD_1
	v_fma_f16 v70, v32, v17, -v70
	v_mul_f16_sdwa v32, v32, v17 dst_sel:DWORD dst_unused:UNUSED_PAD src0_sel:DWORD src1_sel:WORD_1
	v_fma_f16 v55, v55, v17, v32
	v_mul_f16_sdwa v32, v54, v18 dst_sel:DWORD dst_unused:UNUSED_PAD src0_sel:DWORD src1_sel:WORD_1
	v_fma_f16 v32, v33, v18, -v32
	v_mul_f16_sdwa v33, v33, v18 dst_sel:DWORD dst_unused:UNUSED_PAD src0_sel:DWORD src1_sel:WORD_1
	v_fma_f16 v33, v54, v18, v33
	;; [unrolled: 4-line block ×3, first 2 shown]
	v_lshrrev_b32_e32 v35, 16, v16
	v_mul_f16_sdwa v71, v35, v20 dst_sel:DWORD dst_unused:UNUSED_PAD src0_sel:DWORD src1_sel:WORD_1
	v_fma_f16 v71, v16, v20, -v71
	v_mul_f16_sdwa v16, v16, v20 dst_sel:DWORD dst_unused:UNUSED_PAD src0_sel:DWORD src1_sel:WORD_1
	v_fma_f16 v35, v35, v20, v16
	global_load_dword v16, v[57:58], off offset:1600
	s_waitcnt vmcnt(0)
	v_mul_f16_sdwa v57, v29, v16 dst_sel:DWORD dst_unused:UNUSED_PAD src0_sel:DWORD src1_sel:WORD_1
	v_fma_f16 v57, v28, v16, -v57
	v_mul_f16_sdwa v28, v28, v16 dst_sel:DWORD dst_unused:UNUSED_PAD src0_sel:DWORD src1_sel:WORD_1
	v_fma_f16 v58, v29, v16, v28
	v_add_f16_e32 v29, v67, v69
	v_add_f16_e32 v28, v56, v67
	v_fma_f16 v29, v29, -0.5, v56
	v_sub_f16_e32 v56, v62, v64
	v_fma_f16 v72, v56, s6, v29
	v_fma_f16 v29, v56, s7, v29
	v_add_f16_e32 v56, v60, v62
	v_add_f16_e32 v62, v62, v64
	v_fma_f16 v60, v62, -0.5, v60
	v_sub_f16_e32 v62, v67, v69
	v_add_f16_e32 v67, v68, v59
	v_add_f16_e32 v56, v56, v64
	v_fma_f16 v64, v62, s7, v60
	v_fma_f16 v60, v62, s6, v60
	v_add_f16_e32 v62, v66, v68
	v_fma_f16 v66, v67, -0.5, v66
	v_sub_f16_e32 v67, v63, v65
	v_add_f16_e32 v28, v28, v69
	v_fma_f16 v69, v67, s6, v66
	v_fma_f16 v66, v67, s7, v66
	v_add_f16_e32 v67, v61, v63
	v_add_f16_e32 v63, v63, v65
	;; [unrolled: 1-line block ×3, first 2 shown]
	v_fma_f16 v61, v63, -0.5, v61
	v_sub_f16_e32 v59, v68, v59
	v_fma_f16 v63, v59, s7, v61
	v_fma_f16 v59, v59, s6, v61
	v_mul_f16_e32 v73, -0.5, v66
	v_mul_f16_e32 v61, 0x3aee, v63
	v_fma_f16 v73, v59, s6, v73
	v_add_f16_e32 v67, v67, v65
	v_fma_f16 v61, v69, 0.5, v61
	v_add_f16_e32 v74, v29, v73
	v_mul_f16_e32 v69, 0xbaee, v69
	v_mul_f16_e32 v59, -0.5, v59
	v_sub_f16_e32 v73, v29, v73
	v_add_f16_e32 v29, v32, v71
	v_add_f16_e32 v65, v28, v62
	;; [unrolled: 1-line block ×3, first 2 shown]
	v_fma_f16 v63, v63, 0.5, v69
	v_fma_f16 v59, v66, s7, v59
	v_sub_f16_e32 v62, v28, v62
	v_sub_f16_e32 v67, v56, v67
	v_add_f16_e32 v28, v30, v32
	v_fma_f16 v30, v29, -0.5, v30
	v_sub_f16_e32 v56, v33, v35
	v_add_f16_e32 v69, v64, v63
	v_add_f16_e32 v66, v60, v59
	v_sub_f16_e32 v63, v64, v63
	v_sub_f16_e32 v64, v60, v59
	v_fma_f16 v29, v56, s6, v30
	v_fma_f16 v59, v56, s7, v30
	v_add_f16_e32 v30, v31, v33
	v_add_f16_e32 v33, v33, v35
	v_fma_f16 v33, v33, -0.5, v31
	v_sub_f16_e32 v32, v32, v71
	v_fma_f16 v31, v32, s7, v33
	v_fma_f16 v60, v32, s6, v33
	v_add_f16_e32 v33, v54, v57
	v_add_f16_e32 v30, v30, v35
	v_fma_f16 v33, v33, -0.5, v70
	v_sub_f16_e32 v35, v34, v58
	v_add_f16_e32 v68, v72, v61
	v_sub_f16_e32 v72, v72, v61
	v_fma_f16 v56, v35, s6, v33
	v_fma_f16 v61, v35, s7, v33
	v_add_f16_e32 v33, v55, v34
	v_add_f16_e32 v34, v34, v58
	;; [unrolled: 1-line block ×3, first 2 shown]
	v_fma_f16 v34, v34, -0.5, v55
	v_sub_f16_e32 v35, v54, v57
	v_add_f16_e32 v32, v32, v57
	v_fma_f16 v55, v35, s7, v34
	v_fma_f16 v57, v35, s6, v34
	v_mul_f16_e32 v35, -0.5, v61
	v_add_f16_e32 v33, v33, v58
	v_fma_f16 v58, v57, s6, v35
	v_mul_f16_e32 v35, 0xbaee, v56
	v_mul_f16_e32 v34, 0x3aee, v55
	v_fma_f16 v35, v55, 0.5, v35
	v_mul_f16_e32 v55, -0.5, v57
	v_pack_b32_f16 v65, v65, v75
	v_pack_b32_f16 v62, v62, v67
	v_add_f16_e32 v28, v28, v71
	v_fma_f16 v34, v56, 0.5, v34
	v_fma_f16 v70, v61, s7, v55
	ds_write_b32 v36, v65
	v_pack_b32_f16 v65, v68, v69
	ds_write_b32 v36, v62 offset:4800
	v_pack_b32_f16 v62, v72, v63
	v_add_f16_e32 v54, v59, v58
	v_add_f16_e32 v57, v60, v70
	v_sub_f16_e32 v55, v28, v32
	v_sub_f16_e32 v56, v29, v34
	;; [unrolled: 1-line block ×6, first 2 shown]
	ds_write_b32 v36, v65 offset:1600
	v_pack_b32_f16 v65, v74, v66
	ds_write_b32 v36, v62 offset:6400
	v_pack_b32_f16 v62, v73, v64
	ds_write_b32 v36, v65 offset:3200
	ds_write_b32 v36, v62 offset:8000
	s_and_saveexec_b64 s[6:7], s[4:5]
	s_cbranch_execz .LBB0_13
; %bb.12:
	v_add_f16_e32 v30, v30, v33
	v_add_f16_e32 v28, v28, v32
	;; [unrolled: 1-line block ×4, first 2 shown]
	v_pack_b32_f16 v28, v28, v30
	ds_write_b32 v36, v28 offset:960
	v_pack_b32_f16 v28, v29, v31
	s_mov_b32 s14, 0x5040100
	ds_write_b32 v36, v28 offset:2560
	v_perm_b32 v28, v57, v54, s14
	ds_write_b32 v36, v28 offset:4160
	v_perm_b32 v28, v59, v55, s14
	;; [unrolled: 2-line block ×4, first 2 shown]
	ds_write_b32 v36, v28 offset:8960
.LBB0_13:
	s_or_b64 exec, exec, s[6:7]
	v_mov_b32_e32 v28, s17
	v_addc_co_u32_e64 v67, vcc, 0, v28, s[2:3]
	v_add_co_u32_e32 v28, vcc, 0x2580, v25
	v_addc_co_u32_e32 v29, vcc, 0, v67, vcc
	v_add_co_u32_e32 v32, vcc, 0x2000, v25
	v_addc_co_u32_e32 v33, vcc, 0, v67, vcc
	s_waitcnt lgkmcnt(0)
	s_barrier
	global_load_dword v32, v[32:33], off offset:1408
	ds_read2_b32 v[30:31], v36 offset1:240
	global_load_dword v35, v[28:29], off offset:2400
	s_movk_i32 s2, 0x3000
	s_waitcnt lgkmcnt(0)
	v_lshrrev_b32_e32 v34, 16, v30
	s_waitcnt vmcnt(1)
	v_mul_f16_sdwa v33, v34, v32 dst_sel:DWORD dst_unused:UNUSED_PAD src0_sel:DWORD src1_sel:WORD_1
	v_fma_f16 v33, v30, v32, -v33
	v_mul_f16_sdwa v30, v30, v32 dst_sel:DWORD dst_unused:UNUSED_PAD src0_sel:DWORD src1_sel:WORD_1
	v_fma_f16 v30, v34, v32, v30
	v_pack_b32_f16 v30, v33, v30
	ds_write_b32 v36, v30
	v_add_u32_e32 v30, 0x940, v36
	ds_read2_b32 v[32:33], v30 offset0:8 offset1:248
	s_waitcnt lgkmcnt(0)
	v_lshrrev_b32_e32 v34, 16, v32
	s_waitcnt vmcnt(0)
	v_mul_f16_sdwa v62, v34, v35 dst_sel:DWORD dst_unused:UNUSED_PAD src0_sel:DWORD src1_sel:WORD_1
	v_fma_f16 v62, v32, v35, -v62
	v_mul_f16_sdwa v32, v32, v35 dst_sel:DWORD dst_unused:UNUSED_PAD src0_sel:DWORD src1_sel:WORD_1
	v_fma_f16 v32, v34, v35, v32
	v_pack_b32_f16 v68, v62, v32
	v_add_co_u32_e32 v62, vcc, s2, v25
	v_addc_co_u32_e32 v63, vcc, 0, v67, vcc
	global_load_dword v65, v[62:63], off offset:2112
	v_add_u32_e32 v32, 0x12c0, v36
	ds_read2_b32 v[34:35], v32 offset1:240
	s_movk_i32 s2, 0x4000
	s_waitcnt lgkmcnt(0)
	v_lshrrev_b32_e32 v64, 16, v34
	s_waitcnt vmcnt(0)
	v_mul_f16_sdwa v66, v64, v65 dst_sel:DWORD dst_unused:UNUSED_PAD src0_sel:DWORD src1_sel:WORD_1
	v_fma_f16 v66, v34, v65, -v66
	v_mul_f16_sdwa v34, v34, v65 dst_sel:DWORD dst_unused:UNUSED_PAD src0_sel:DWORD src1_sel:WORD_1
	v_fma_f16 v34, v64, v65, v34
	v_pack_b32_f16 v69, v66, v34
	v_add_co_u32_e32 v66, vcc, s2, v25
	v_addc_co_u32_e32 v67, vcc, 0, v67, vcc
	global_load_dword v71, v[66:67], off offset:416
	v_add_u32_e32 v34, 0x1c00, v36
	ds_read2_b32 v[64:65], v34 offset0:8 offset1:248
	s_waitcnt lgkmcnt(0)
	v_lshrrev_b32_e32 v70, 16, v64
	s_waitcnt vmcnt(0)
	v_mul_f16_sdwa v72, v70, v71 dst_sel:DWORD dst_unused:UNUSED_PAD src0_sel:DWORD src1_sel:WORD_1
	v_fma_f16 v72, v64, v71, -v72
	v_mul_f16_sdwa v64, v64, v71 dst_sel:DWORD dst_unused:UNUSED_PAD src0_sel:DWORD src1_sel:WORD_1
	v_fma_f16 v64, v70, v71, v64
	global_load_dword v71, v[28:29], off offset:960
	v_lshrrev_b32_e32 v70, 16, v31
	v_pack_b32_f16 v64, v72, v64
	s_waitcnt vmcnt(0)
	v_mul_f16_sdwa v72, v70, v71 dst_sel:DWORD dst_unused:UNUSED_PAD src0_sel:DWORD src1_sel:WORD_1
	v_fma_f16 v72, v31, v71, -v72
	v_mul_f16_sdwa v31, v31, v71 dst_sel:DWORD dst_unused:UNUSED_PAD src0_sel:DWORD src1_sel:WORD_1
	v_fma_f16 v31, v70, v71, v31
	global_load_dword v70, v[28:29], off offset:3360
	v_pack_b32_f16 v31, v72, v31
	ds_write_b32 v36, v31 offset:960
	v_lshrrev_b32_e32 v31, 16, v33
	s_waitcnt vmcnt(0)
	v_mul_f16_sdwa v71, v31, v70 dst_sel:DWORD dst_unused:UNUSED_PAD src0_sel:DWORD src1_sel:WORD_1
	v_fma_f16 v71, v33, v70, -v71
	v_mul_f16_sdwa v33, v33, v70 dst_sel:DWORD dst_unused:UNUSED_PAD src0_sel:DWORD src1_sel:WORD_1
	v_fma_f16 v31, v31, v70, v33
	global_load_dword v33, v[62:63], off offset:3072
	v_pack_b32_f16 v31, v71, v31
	ds_write2_b32 v30, v68, v31 offset0:8 offset1:248
	v_lshrrev_b32_e32 v31, 16, v35
	s_waitcnt vmcnt(0)
	v_mul_f16_sdwa v62, v31, v33 dst_sel:DWORD dst_unused:UNUSED_PAD src0_sel:DWORD src1_sel:WORD_1
	v_fma_f16 v62, v35, v33, -v62
	v_mul_f16_sdwa v35, v35, v33 dst_sel:DWORD dst_unused:UNUSED_PAD src0_sel:DWORD src1_sel:WORD_1
	v_fma_f16 v31, v31, v33, v35
	global_load_dword v33, v[66:67], off offset:1376
	v_pack_b32_f16 v31, v62, v31
	ds_write2_b32 v32, v69, v31 offset1:240
	v_lshrrev_b32_e32 v31, 16, v65
	s_waitcnt vmcnt(0)
	v_mul_f16_sdwa v35, v31, v33 dst_sel:DWORD dst_unused:UNUSED_PAD src0_sel:DWORD src1_sel:WORD_1
	v_mul_f16_sdwa v62, v65, v33 dst_sel:DWORD dst_unused:UNUSED_PAD src0_sel:DWORD src1_sel:WORD_1
	v_fma_f16 v35, v65, v33, -v35
	v_fma_f16 v31, v31, v33, v62
	v_pack_b32_f16 v31, v35, v31
	ds_write2_b32 v34, v64, v31 offset0:8 offset1:248
	s_and_saveexec_b64 s[2:3], s[0:1]
	s_cbranch_execz .LBB0_15
; %bb.14:
	v_add_co_u32_e32 v62, vcc, 0x1000, v28
	global_load_dword v31, v[28:29], off offset:1920
	v_addc_co_u32_e32 v63, vcc, 0, v29, vcc
	v_add_co_u32_e32 v28, vcc, 0x2000, v28
	global_load_dword v33, v[62:63], off offset:224
	global_load_dword v35, v[62:63], off offset:2624
	v_addc_co_u32_e32 v29, vcc, 0, v29, vcc
	global_load_dword v28, v[28:29], off offset:928
	ds_read_b32 v29, v36 offset:1920
	ds_read_b32 v62, v36 offset:4320
	;; [unrolled: 1-line block ×4, first 2 shown]
	s_waitcnt lgkmcnt(3)
	v_lshrrev_b32_e32 v65, 16, v29
	s_waitcnt lgkmcnt(2)
	v_lshrrev_b32_e32 v66, 16, v62
	;; [unrolled: 2-line block ×4, first 2 shown]
	s_waitcnt vmcnt(3)
	v_mul_f16_sdwa v69, v65, v31 dst_sel:DWORD dst_unused:UNUSED_PAD src0_sel:DWORD src1_sel:WORD_1
	v_mul_f16_sdwa v70, v29, v31 dst_sel:DWORD dst_unused:UNUSED_PAD src0_sel:DWORD src1_sel:WORD_1
	v_fma_f16 v29, v29, v31, -v69
	v_fma_f16 v31, v65, v31, v70
	v_pack_b32_f16 v29, v29, v31
	s_waitcnt vmcnt(2)
	v_mul_f16_sdwa v31, v66, v33 dst_sel:DWORD dst_unused:UNUSED_PAD src0_sel:DWORD src1_sel:WORD_1
	v_mul_f16_sdwa v65, v62, v33 dst_sel:DWORD dst_unused:UNUSED_PAD src0_sel:DWORD src1_sel:WORD_1
	s_waitcnt vmcnt(1)
	v_mul_f16_sdwa v69, v67, v35 dst_sel:DWORD dst_unused:UNUSED_PAD src0_sel:DWORD src1_sel:WORD_1
	v_mul_f16_sdwa v70, v63, v35 dst_sel:DWORD dst_unused:UNUSED_PAD src0_sel:DWORD src1_sel:WORD_1
	ds_write_b32 v36, v29 offset:1920
	v_fma_f16 v29, v62, v33, -v31
	v_fma_f16 v31, v66, v33, v65
	v_fma_f16 v33, v63, v35, -v69
	v_fma_f16 v35, v67, v35, v70
	s_waitcnt vmcnt(0)
	v_mul_f16_sdwa v62, v68, v28 dst_sel:DWORD dst_unused:UNUSED_PAD src0_sel:DWORD src1_sel:WORD_1
	v_mul_f16_sdwa v63, v64, v28 dst_sel:DWORD dst_unused:UNUSED_PAD src0_sel:DWORD src1_sel:WORD_1
	v_pack_b32_f16 v29, v29, v31
	v_pack_b32_f16 v31, v33, v35
	v_fma_f16 v33, v64, v28, -v62
	v_fma_f16 v28, v68, v28, v63
	v_pack_b32_f16 v28, v33, v28
	ds_write_b32 v36, v29 offset:4320
	ds_write_b32 v36, v31 offset:6720
	;; [unrolled: 1-line block ×3, first 2 shown]
.LBB0_15:
	s_or_b64 exec, exec, s[2:3]
	s_waitcnt lgkmcnt(0)
	s_barrier
	ds_read2_b32 v[28:29], v36 offset1:240
	ds_read2_b32 v[30:31], v30 offset0:8 offset1:248
	ds_read2_b32 v[32:33], v32 offset1:240
	ds_read2_b32 v[34:35], v34 offset0:8 offset1:248
	s_and_saveexec_b64 s[2:3], s[0:1]
	s_cbranch_execz .LBB0_17
; %bb.16:
	ds_read_b32 v54, v36 offset:1920
	ds_read_b32 v55, v36 offset:4320
	ds_read_b32 v56, v36 offset:6720
	ds_read_b32 v58, v36 offset:9120
	s_waitcnt lgkmcnt(3)
	v_lshrrev_b32_e32 v57, 16, v54
	s_waitcnt lgkmcnt(2)
	v_lshrrev_b32_e32 v59, 16, v55
	;; [unrolled: 2-line block ×4, first 2 shown]
.LBB0_17:
	s_or_b64 exec, exec, s[2:3]
	s_waitcnt lgkmcnt(1)
	v_pk_add_f16 v62, v28, v32 neg_lo:[0,1] neg_hi:[0,1]
	s_waitcnt lgkmcnt(0)
	v_pk_add_f16 v63, v30, v34 neg_lo:[0,1] neg_hi:[0,1]
	v_lshrrev_b32_e32 v32, 16, v62
	v_sub_f16_e32 v66, v32, v63
	v_pk_add_f16 v69, v29, v33 neg_lo:[0,1] neg_hi:[0,1]
	v_fma_f16 v68, v32, 2.0, -v66
	v_pk_add_f16 v70, v31, v35 neg_lo:[0,1] neg_hi:[0,1]
	v_lshrrev_b32_e32 v32, 16, v69
	v_pk_fma_f16 v28, v28, 2.0, v62 op_sel_hi:[1,0,1] neg_lo:[0,0,1] neg_hi:[0,0,1]
	v_pk_fma_f16 v30, v30, 2.0, v63 op_sel_hi:[1,0,1] neg_lo:[0,0,1] neg_hi:[0,0,1]
	v_add_f16_sdwa v65, v62, v63 dst_sel:DWORD dst_unused:UNUSED_PAD src0_sel:DWORD src1_sel:WORD_1
	v_sub_f16_e32 v72, v32, v70
	v_pk_add_f16 v64, v28, v30 neg_lo:[0,1] neg_hi:[0,1]
	v_fma_f16 v67, v62, 2.0, -v65
	v_add_f16_sdwa v71, v69, v70 dst_sel:DWORD dst_unused:UNUSED_PAD src0_sel:DWORD src1_sel:WORD_1
	v_fma_f16 v74, v32, 2.0, -v72
	v_sub_f16_e32 v56, v54, v56
	v_sub_f16_e32 v61, v57, v61
	;; [unrolled: 1-line block ×4, first 2 shown]
	v_pk_fma_f16 v62, v28, 2.0, v64 op_sel_hi:[1,0,1] neg_lo:[0,0,1] neg_hi:[0,0,1]
	v_pk_fma_f16 v28, v29, 2.0, v69 op_sel_hi:[1,0,1] neg_lo:[0,0,1] neg_hi:[0,0,1]
	;; [unrolled: 1-line block ×3, first 2 shown]
	v_fma_f16 v73, v69, 2.0, -v71
	v_fma_f16 v54, v54, 2.0, -v56
	v_fma_f16 v57, v57, 2.0, -v61
	v_fma_f16 v34, v55, 2.0, -v33
	v_fma_f16 v35, v59, 2.0, -v32
	v_pk_add_f16 v30, v28, v29 neg_lo:[0,1] neg_hi:[0,1]
	v_sub_f16_e32 v34, v54, v34
	v_sub_f16_e32 v35, v57, v35
	v_add_f16_e32 v32, v32, v56
	v_sub_f16_e32 v33, v61, v33
	v_pack_b32_f16 v65, v65, v66
	v_pack_b32_f16 v63, v67, v68
	v_pk_fma_f16 v28, v28, 2.0, v30 op_sel_hi:[1,0,1] neg_lo:[0,0,1] neg_hi:[0,0,1]
	v_pack_b32_f16 v31, v71, v72
	v_pack_b32_f16 v29, v73, v74
	s_barrier
	ds_write_b128 v46, v[62:65]
	ds_write_b128 v47, v[28:31]
	s_and_saveexec_b64 s[2:3], s[0:1]
	s_cbranch_execz .LBB0_19
; %bb.18:
	v_fma_f16 v28, v56, 2.0, -v32
	v_fma_f16 v29, v61, 2.0, -v33
	v_fma_f16 v30, v54, 2.0, -v34
	v_fma_f16 v31, v57, 2.0, -v35
	s_mov_b32 s6, 0x5040100
	v_pack_b32_f16 v29, v28, v29
	v_pack_b32_f16 v28, v30, v31
	v_perm_b32 v31, v33, v32, s6
	v_perm_b32 v30, v35, v34, s6
	ds_write_b128 v48, v[28:31]
.LBB0_19:
	s_or_b64 exec, exec, s[2:3]
	s_waitcnt lgkmcnt(0)
	s_barrier
	ds_read2_b32 v[28:29], v36 offset1:240
	v_add_u32_e32 v48, 0x780, v36
	ds_read2_b32 v[30:31], v48 offset1:240
	v_add_u32_e32 v62, 0xf00, v36
	ds_read2_b32 v[46:47], v62 offset1:240
	s_waitcnt lgkmcnt(2)
	v_lshrrev_b32_e32 v59, 16, v29
	v_mul_f16_sdwa v71, v0, v59 dst_sel:DWORD dst_unused:UNUSED_PAD src0_sel:WORD_1 src1_sel:DWORD
	s_waitcnt lgkmcnt(1)
	v_lshrrev_b32_e32 v60, 16, v30
	v_fma_f16 v71, v0, v29, v71
	v_mul_f16_sdwa v29, v0, v29 dst_sel:DWORD dst_unused:UNUSED_PAD src0_sel:WORD_1 src1_sel:DWORD
	v_fma_f16 v0, v0, v59, -v29
	v_mul_f16_sdwa v29, v1, v60 dst_sel:DWORD dst_unused:UNUSED_PAD src0_sel:WORD_1 src1_sel:DWORD
	v_lshrrev_b32_e32 v61, 16, v31
	v_add_u32_e32 v63, 0x1680, v36
	v_fma_f16 v29, v1, v30, v29
	v_mul_f16_sdwa v30, v1, v30 dst_sel:DWORD dst_unused:UNUSED_PAD src0_sel:WORD_1 src1_sel:DWORD
	ds_read2_b32 v[54:55], v63 offset1:240
	v_fma_f16 v1, v1, v60, -v30
	v_mul_f16_sdwa v30, v2, v61 dst_sel:DWORD dst_unused:UNUSED_PAD src0_sel:WORD_1 src1_sel:DWORD
	s_waitcnt lgkmcnt(1)
	v_lshrrev_b32_e32 v65, 16, v46
	v_fma_f16 v30, v2, v31, v30
	v_mul_f16_sdwa v31, v2, v31 dst_sel:DWORD dst_unused:UNUSED_PAD src0_sel:WORD_1 src1_sel:DWORD
	v_fma_f16 v2, v2, v61, -v31
	v_mul_f16_sdwa v31, v3, v65 dst_sel:DWORD dst_unused:UNUSED_PAD src0_sel:WORD_1 src1_sel:DWORD
	v_add_u32_e32 v64, 0x1e00, v36
	v_lshrrev_b32_e32 v66, 16, v47
	v_fma_f16 v31, v3, v46, v31
	v_mul_f16_sdwa v46, v3, v46 dst_sel:DWORD dst_unused:UNUSED_PAD src0_sel:WORD_1 src1_sel:DWORD
	ds_read2_b32 v[56:57], v64 offset1:240
	v_fma_f16 v3, v3, v65, -v46
	v_mul_f16_sdwa v46, v4, v66 dst_sel:DWORD dst_unused:UNUSED_PAD src0_sel:WORD_1 src1_sel:DWORD
	s_waitcnt lgkmcnt(1)
	v_lshrrev_b32_e32 v67, 16, v54
	v_fma_f16 v46, v4, v47, v46
	v_mul_f16_sdwa v47, v4, v47 dst_sel:DWORD dst_unused:UNUSED_PAD src0_sel:WORD_1 src1_sel:DWORD
	v_fma_f16 v4, v4, v66, -v47
	v_mul_f16_sdwa v47, v5, v67 dst_sel:DWORD dst_unused:UNUSED_PAD src0_sel:WORD_1 src1_sel:DWORD
	v_lshrrev_b32_e32 v68, 16, v55
	v_fma_f16 v47, v5, v54, v47
	v_mul_f16_sdwa v54, v5, v54 dst_sel:DWORD dst_unused:UNUSED_PAD src0_sel:WORD_1 src1_sel:DWORD
	v_fma_f16 v5, v5, v67, -v54
	v_mul_f16_sdwa v54, v6, v68 dst_sel:DWORD dst_unused:UNUSED_PAD src0_sel:WORD_1 src1_sel:DWORD
	s_waitcnt lgkmcnt(0)
	v_lshrrev_b32_e32 v69, 16, v56
	v_fma_f16 v54, v6, v55, v54
	v_mul_f16_sdwa v55, v6, v55 dst_sel:DWORD dst_unused:UNUSED_PAD src0_sel:WORD_1 src1_sel:DWORD
	v_fma_f16 v6, v6, v68, -v55
	v_mul_f16_sdwa v55, v7, v69 dst_sel:DWORD dst_unused:UNUSED_PAD src0_sel:WORD_1 src1_sel:DWORD
	v_fma_f16 v55, v7, v56, v55
	v_mul_f16_sdwa v56, v7, v56 dst_sel:DWORD dst_unused:UNUSED_PAD src0_sel:WORD_1 src1_sel:DWORD
	v_fma_f16 v7, v7, v69, -v56
	v_add_f16_e32 v59, v31, v47
	v_fma_f16 v59, v59, -0.5, v28
	v_sub_f16_e32 v60, v1, v7
	s_mov_b32 s14, 0xbb9c
	s_movk_i32 s3, 0x3b9c
	v_lshrrev_b32_e32 v70, 16, v57
	v_fma_f16 v61, v60, s14, v59
	v_sub_f16_e32 v65, v3, v5
	s_mov_b32 s7, 0xb8b4
	v_sub_f16_e32 v66, v29, v31
	v_sub_f16_e32 v67, v55, v47
	v_fma_f16 v59, v60, s3, v59
	s_movk_i32 s2, 0x38b4
	v_mul_f16_sdwa v56, v49, v70 dst_sel:DWORD dst_unused:UNUSED_PAD src0_sel:WORD_1 src1_sel:DWORD
	v_fma_f16 v61, v65, s7, v61
	v_add_f16_e32 v66, v66, v67
	s_movk_i32 s6, 0x34f2
	v_fma_f16 v59, v65, s2, v59
	v_fma_f16 v56, v49, v57, v56
	v_mul_f16_sdwa v57, v49, v57 dst_sel:DWORD dst_unused:UNUSED_PAD src0_sel:WORD_1 src1_sel:DWORD
	v_fma_f16 v61, v66, s6, v61
	v_fma_f16 v59, v66, s6, v59
	v_add_f16_e32 v66, v29, v55
	v_lshrrev_b32_e32 v58, 16, v28
	v_fma_f16 v49, v49, v70, -v57
	v_add_f16_e32 v57, v28, v29
	v_fma_f16 v28, v66, -0.5, v28
	v_add_f16_e32 v57, v57, v31
	v_fma_f16 v66, v65, s3, v28
	v_fma_f16 v28, v65, s14, v28
	v_add_f16_e32 v65, v3, v5
	v_add_f16_e32 v57, v57, v47
	v_sub_f16_e32 v67, v31, v29
	v_sub_f16_e32 v68, v47, v55
	v_fma_f16 v65, v65, -0.5, v58
	v_sub_f16_e32 v29, v29, v55
	v_add_f16_e32 v57, v57, v55
	v_fma_f16 v66, v60, s7, v66
	v_add_f16_e32 v67, v67, v68
	v_fma_f16 v28, v60, s2, v28
	v_fma_f16 v55, v29, s3, v65
	v_sub_f16_e32 v31, v31, v47
	v_fma_f16 v66, v67, s6, v66
	v_fma_f16 v28, v67, s6, v28
	;; [unrolled: 1-line block ×3, first 2 shown]
	v_sub_f16_e32 v55, v1, v3
	v_sub_f16_e32 v67, v7, v5
	v_fma_f16 v65, v29, s14, v65
	v_add_f16_e32 v60, v58, v1
	v_add_f16_e32 v55, v55, v67
	v_fma_f16 v65, v31, s7, v65
	v_add_f16_e32 v60, v60, v3
	v_fma_f16 v47, v55, s6, v47
	v_fma_f16 v55, v55, s6, v65
	v_add_f16_e32 v65, v1, v7
	v_add_f16_e32 v60, v60, v5
	v_fma_f16 v58, v65, -0.5, v58
	v_add_f16_e32 v60, v60, v7
	v_fma_f16 v65, v31, s14, v58
	v_sub_f16_e32 v1, v3, v1
	v_sub_f16_e32 v3, v5, v7
	v_fma_f16 v5, v31, s3, v58
	v_add_f16_e32 v7, v46, v54
	v_fma_f16 v65, v29, s2, v65
	v_add_f16_e32 v1, v1, v3
	v_fma_f16 v5, v29, s7, v5
	v_fma_f16 v7, v7, -0.5, v71
	v_sub_f16_e32 v29, v2, v49
	v_fma_f16 v3, v1, s6, v65
	v_fma_f16 v31, v29, s14, v7
	v_sub_f16_e32 v58, v4, v6
	v_sub_f16_e32 v65, v30, v46
	;; [unrolled: 1-line block ×3, first 2 shown]
	v_fma_f16 v7, v29, s3, v7
	v_fma_f16 v31, v58, s7, v31
	v_add_f16_e32 v65, v65, v67
	v_fma_f16 v7, v58, s2, v7
	v_fma_f16 v31, v65, s6, v31
	;; [unrolled: 1-line block ×3, first 2 shown]
	v_add_f16_e32 v65, v30, v56
	v_fma_f16 v1, v1, s6, v5
	v_add_f16_e32 v5, v71, v30
	v_fma_f16 v65, v65, -0.5, v71
	v_add_f16_e32 v5, v5, v46
	v_fma_f16 v67, v58, s3, v65
	v_fma_f16 v58, v58, s14, v65
	v_add_f16_e32 v65, v4, v6
	v_add_f16_e32 v5, v5, v54
	v_sub_f16_e32 v68, v46, v30
	v_sub_f16_e32 v69, v54, v56
	v_fma_f16 v65, v65, -0.5, v0
	v_sub_f16_e32 v30, v30, v56
	v_add_f16_e32 v5, v5, v56
	v_fma_f16 v67, v29, s7, v67
	v_add_f16_e32 v68, v68, v69
	v_fma_f16 v29, v29, s2, v58
	v_fma_f16 v56, v30, s3, v65
	v_sub_f16_e32 v46, v46, v54
	v_fma_f16 v67, v68, s6, v67
	v_fma_f16 v29, v68, s6, v29
	;; [unrolled: 1-line block ×3, first 2 shown]
	v_sub_f16_e32 v56, v2, v4
	v_sub_f16_e32 v68, v49, v6
	v_fma_f16 v65, v30, s14, v65
	v_add_f16_e32 v56, v56, v68
	v_fma_f16 v65, v46, s7, v65
	v_fma_f16 v54, v56, s6, v54
	;; [unrolled: 1-line block ×3, first 2 shown]
	v_add_f16_e32 v65, v2, v49
	v_add_f16_e32 v58, v0, v2
	v_fma_f16 v0, v65, -0.5, v0
	v_add_f16_e32 v58, v58, v4
	v_fma_f16 v65, v46, s14, v0
	v_sub_f16_e32 v2, v4, v2
	v_sub_f16_e32 v4, v6, v49
	v_fma_f16 v0, v46, s3, v0
	v_fma_f16 v65, v30, s2, v65
	v_add_f16_e32 v2, v2, v4
	v_fma_f16 v0, v30, s7, v0
	v_add_f16_e32 v58, v58, v6
	v_fma_f16 v4, v2, s6, v65
	v_fma_f16 v0, v2, s6, v0
	v_mul_f16_e32 v6, 0xb8b4, v54
	s_movk_i32 s15, 0x3a79
	v_mul_f16_e32 v54, 0x3a79, v54
	v_add_f16_e32 v58, v58, v49
	v_fma_f16 v6, v31, s15, v6
	v_mul_f16_e32 v46, 0xbb9c, v4
	v_mul_f16_e32 v65, 0xbb9c, v0
	s_mov_b32 s16, 0xb4f2
	v_fma_f16 v31, v31, s2, v54
	v_mul_f16_e32 v4, 0x34f2, v4
	v_mul_f16_e32 v0, 0xb4f2, v0
	v_add_f16_e32 v2, v57, v5
	v_add_f16_e32 v30, v61, v6
	v_fma_f16 v46, v67, s6, v46
	v_fma_f16 v65, v29, s16, v65
	v_mul_f16_e32 v69, 0xb8b4, v56
	s_mov_b32 s17, 0xba79
	v_add_f16_e32 v71, v60, v58
	v_add_f16_e32 v54, v47, v31
	v_fma_f16 v4, v67, s3, v4
	v_fma_f16 v0, v29, s3, v0
	v_mul_f16_e32 v56, 0xba79, v56
	v_add_f16_e32 v49, v66, v46
	v_add_f16_e32 v68, v28, v65
	v_fma_f16 v69, v7, s17, v69
	v_add_f16_e32 v67, v3, v4
	v_add_f16_e32 v29, v1, v0
	v_fma_f16 v7, v7, s2, v56
	v_sub_f16_e32 v3, v3, v4
	v_pack_b32_f16 v2, v2, v71
	v_pack_b32_f16 v4, v30, v54
	v_add_f16_e32 v70, v59, v69
	v_add_f16_e32 v56, v55, v7
	v_sub_f16_e32 v5, v57, v5
	v_sub_f16_e32 v58, v60, v58
	s_barrier
	ds_write2_b32 v50, v2, v4 offset1:4
	v_pack_b32_f16 v2, v49, v67
	v_pack_b32_f16 v4, v68, v29
	v_sub_f16_e32 v6, v61, v6
	v_sub_f16_e32 v46, v66, v46
	;; [unrolled: 1-line block ×7, first 2 shown]
	ds_write2_b32 v50, v2, v4 offset0:8 offset1:12
	v_pack_b32_f16 v2, v70, v56
	v_pack_b32_f16 v4, v5, v58
	ds_write2_b32 v50, v2, v4 offset0:16 offset1:20
	v_pack_b32_f16 v2, v6, v31
	v_pack_b32_f16 v3, v46, v3
	;; [unrolled: 1-line block ×4, first 2 shown]
	ds_write2_b32 v50, v2, v3 offset0:24 offset1:28
	ds_write2_b32 v50, v0, v1 offset0:32 offset1:36
	s_waitcnt lgkmcnt(0)
	s_barrier
	ds_read2_b32 v[0:1], v36 offset1:240
	ds_read2_b32 v[2:3], v48 offset1:240
	;; [unrolled: 1-line block ×5, first 2 shown]
	s_waitcnt lgkmcnt(4)
	v_lshrrev_b32_e32 v31, 16, v1
	v_mul_f16_sdwa v57, v8, v31 dst_sel:DWORD dst_unused:UNUSED_PAD src0_sel:WORD_1 src1_sel:DWORD
	s_waitcnt lgkmcnt(3)
	v_lshrrev_b32_e32 v46, 16, v2
	v_fma_f16 v57, v8, v1, v57
	v_mul_f16_sdwa v1, v8, v1 dst_sel:DWORD dst_unused:UNUSED_PAD src0_sel:WORD_1 src1_sel:DWORD
	v_fma_f16 v1, v8, v31, -v1
	v_mul_f16_sdwa v8, v9, v46 dst_sel:DWORD dst_unused:UNUSED_PAD src0_sel:WORD_1 src1_sel:DWORD
	v_lshrrev_b32_e32 v47, 16, v3
	v_fma_f16 v8, v9, v2, v8
	v_mul_f16_sdwa v2, v9, v2 dst_sel:DWORD dst_unused:UNUSED_PAD src0_sel:WORD_1 src1_sel:DWORD
	v_fma_f16 v2, v9, v46, -v2
	v_mul_f16_sdwa v9, v10, v47 dst_sel:DWORD dst_unused:UNUSED_PAD src0_sel:WORD_1 src1_sel:DWORD
	s_waitcnt lgkmcnt(2)
	v_lshrrev_b32_e32 v48, 16, v4
	v_fma_f16 v9, v10, v3, v9
	v_mul_f16_sdwa v3, v10, v3 dst_sel:DWORD dst_unused:UNUSED_PAD src0_sel:WORD_1 src1_sel:DWORD
	v_fma_f16 v3, v10, v47, -v3
	v_mul_f16_sdwa v10, v11, v48 dst_sel:DWORD dst_unused:UNUSED_PAD src0_sel:WORD_1 src1_sel:DWORD
	v_lshrrev_b32_e32 v49, 16, v5
	v_fma_f16 v10, v11, v4, v10
	v_mul_f16_sdwa v4, v11, v4 dst_sel:DWORD dst_unused:UNUSED_PAD src0_sel:WORD_1 src1_sel:DWORD
	v_fma_f16 v4, v11, v48, -v4
	;; [unrolled: 11-line block ×4, first 2 shown]
	v_mul_f16_sdwa v28, v51, v56 dst_sel:DWORD dst_unused:UNUSED_PAD src0_sel:WORD_1 src1_sel:DWORD
	v_add_f16_e32 v46, v10, v12
	v_fma_f16 v28, v51, v29, v28
	v_mul_f16_sdwa v29, v51, v29 dst_sel:DWORD dst_unused:UNUSED_PAD src0_sel:WORD_1 src1_sel:DWORD
	v_fma_f16 v46, v46, -0.5, v0
	v_sub_f16_e32 v47, v2, v15
	v_fma_f16 v29, v51, v56, -v29
	v_fma_f16 v48, v47, s14, v46
	v_sub_f16_e32 v49, v4, v6
	v_sub_f16_e32 v50, v8, v10
	;; [unrolled: 1-line block ×3, first 2 shown]
	v_fma_f16 v46, v47, s3, v46
	v_fma_f16 v48, v49, s7, v48
	v_add_f16_e32 v50, v50, v51
	v_fma_f16 v46, v49, s2, v46
	v_fma_f16 v48, v50, s6, v48
	v_fma_f16 v46, v50, s6, v46
	v_add_f16_e32 v50, v8, v14
	v_lshrrev_b32_e32 v30, 16, v0
	v_add_f16_e32 v31, v0, v8
	v_fma_f16 v0, v50, -0.5, v0
	v_fma_f16 v50, v49, s3, v0
	v_sub_f16_e32 v51, v10, v8
	v_sub_f16_e32 v54, v12, v14
	v_fma_f16 v0, v49, s14, v0
	v_add_f16_e32 v51, v51, v54
	v_fma_f16 v0, v47, s2, v0
	v_fma_f16 v50, v47, s7, v50
	;; [unrolled: 1-line block ×3, first 2 shown]
	v_add_f16_e32 v0, v30, v2
	v_add_f16_e32 v0, v0, v4
	;; [unrolled: 1-line block ×7, first 2 shown]
	v_fma_f16 v0, v0, -0.5, v30
	v_sub_f16_e32 v8, v8, v14
	v_add_f16_e32 v31, v31, v14
	v_fma_f16 v14, v8, s3, v0
	v_sub_f16_e32 v10, v10, v12
	v_fma_f16 v50, v51, s6, v50
	v_fma_f16 v12, v10, s2, v14
	v_sub_f16_e32 v14, v2, v4
	v_sub_f16_e32 v51, v15, v6
	v_fma_f16 v0, v8, s14, v0
	v_add_f16_e32 v14, v14, v51
	v_fma_f16 v0, v10, s7, v0
	v_fma_f16 v12, v14, s6, v12
	;; [unrolled: 1-line block ×3, first 2 shown]
	v_add_f16_e32 v0, v2, v15
	v_fma_f16 v0, v0, -0.5, v30
	v_fma_f16 v30, v10, s14, v0
	v_sub_f16_e32 v2, v4, v2
	v_sub_f16_e32 v4, v6, v15
	v_fma_f16 v0, v10, s3, v0
	v_fma_f16 v30, v8, s2, v30
	v_add_f16_e32 v2, v2, v4
	v_fma_f16 v0, v8, s7, v0
	v_fma_f16 v4, v2, s6, v30
	v_fma_f16 v6, v2, s6, v0
	v_add_f16_e32 v2, v11, v13
	v_fma_f16 v2, v2, -0.5, v57
	v_sub_f16_e32 v8, v3, v29
	v_fma_f16 v10, v8, s14, v2
	v_sub_f16_e32 v15, v5, v7
	v_sub_f16_e32 v30, v9, v11
	;; [unrolled: 1-line block ×3, first 2 shown]
	v_fma_f16 v2, v8, s3, v2
	v_fma_f16 v10, v15, s7, v10
	v_add_f16_e32 v30, v30, v51
	v_fma_f16 v2, v15, s2, v2
	v_fma_f16 v10, v30, s6, v10
	;; [unrolled: 1-line block ×3, first 2 shown]
	v_add_f16_e32 v30, v9, v28
	v_add_f16_e32 v0, v57, v9
	v_fma_f16 v30, v30, -0.5, v57
	v_add_f16_e32 v0, v0, v11
	v_fma_f16 v51, v15, s3, v30
	v_fma_f16 v15, v15, s14, v30
	v_add_f16_e32 v30, v5, v7
	v_add_f16_e32 v0, v0, v13
	v_sub_f16_e32 v54, v11, v9
	v_sub_f16_e32 v55, v13, v28
	v_fma_f16 v30, v30, -0.5, v1
	v_sub_f16_e32 v9, v9, v28
	v_add_f16_e32 v0, v0, v28
	v_fma_f16 v51, v8, s7, v51
	v_add_f16_e32 v54, v54, v55
	v_fma_f16 v8, v8, s2, v15
	v_fma_f16 v28, v9, s3, v30
	v_sub_f16_e32 v11, v11, v13
	v_fma_f16 v51, v54, s6, v51
	v_fma_f16 v8, v54, s6, v8
	v_fma_f16 v13, v11, s2, v28
	v_sub_f16_e32 v28, v3, v5
	v_sub_f16_e32 v54, v29, v7
	v_fma_f16 v30, v9, s14, v30
	v_add_f16_e32 v28, v28, v54
	v_fma_f16 v30, v11, s7, v30
	v_fma_f16 v13, v28, s6, v13
	;; [unrolled: 1-line block ×3, first 2 shown]
	v_add_f16_e32 v30, v3, v29
	v_add_f16_e32 v15, v1, v3
	v_fma_f16 v1, v30, -0.5, v1
	v_add_f16_e32 v15, v15, v5
	v_fma_f16 v30, v11, s14, v1
	v_sub_f16_e32 v3, v5, v3
	v_sub_f16_e32 v5, v7, v29
	v_fma_f16 v1, v11, s3, v1
	v_fma_f16 v30, v9, s2, v30
	v_add_f16_e32 v3, v3, v5
	v_fma_f16 v1, v9, s7, v1
	v_add_f16_e32 v15, v15, v7
	v_fma_f16 v5, v3, s6, v30
	v_fma_f16 v1, v3, s6, v1
	v_mul_f16_e32 v3, 0xb8b4, v13
	v_mul_f16_e32 v13, 0x3a79, v13
	v_add_f16_e32 v15, v15, v29
	v_fma_f16 v3, v10, s15, v3
	v_mul_f16_e32 v7, 0xbb9c, v5
	v_mul_f16_e32 v30, 0xbb9c, v1
	v_fma_f16 v10, v10, s2, v13
	v_mul_f16_e32 v5, 0x34f2, v5
	v_mul_f16_e32 v1, 0xb4f2, v1
	v_add_f16_e32 v9, v31, v0
	v_add_f16_e32 v11, v48, v3
	v_fma_f16 v7, v51, s6, v7
	v_fma_f16 v30, v8, s16, v30
	v_mul_f16_e32 v55, 0xb8b4, v28
	v_add_f16_e32 v57, v49, v15
	v_add_f16_e32 v13, v12, v10
	v_fma_f16 v51, v51, s3, v5
	v_fma_f16 v8, v8, s3, v1
	v_mul_f16_e32 v1, 0xba79, v28
	v_add_f16_e32 v29, v50, v7
	v_add_f16_e32 v54, v47, v30
	v_fma_f16 v55, v2, s17, v55
	v_add_f16_e32 v58, v4, v51
	v_add_f16_e32 v59, v6, v8
	v_fma_f16 v28, v2, s2, v1
	v_sub_f16_e32 v1, v50, v7
	v_sub_f16_e32 v7, v6, v8
	v_pack_b32_f16 v8, v9, v57
	v_pack_b32_f16 v9, v11, v13
	v_add_f16_e32 v56, v46, v55
	v_add_f16_e32 v60, v14, v28
	v_sub_f16_e32 v31, v31, v0
	v_sub_f16_e32 v15, v49, v15
	s_barrier
	ds_write2_b32 v52, v8, v9 offset1:40
	v_pack_b32_f16 v8, v29, v58
	v_pack_b32_f16 v9, v54, v59
	v_sub_f16_e32 v0, v48, v3
	v_sub_f16_e32 v2, v12, v10
	;; [unrolled: 1-line block ×3, first 2 shown]
	ds_write2_b32 v52, v8, v9 offset0:80 offset1:120
	v_pack_b32_f16 v8, v56, v60
	v_pack_b32_f16 v9, v31, v15
	v_sub_f16_e32 v5, v47, v30
	v_sub_f16_e32 v3, v46, v55
	;; [unrolled: 1-line block ×3, first 2 shown]
	ds_write2_b32 v52, v8, v9 offset0:160 offset1:200
	v_pack_b32_f16 v8, v0, v2
	v_pack_b32_f16 v9, v1, v4
	v_add_u32_e32 v10, 0x200, v52
	ds_write2_b32 v10, v8, v9 offset0:112 offset1:152
	v_pack_b32_f16 v8, v5, v7
	v_pack_b32_f16 v9, v3, v6
	v_add_u32_e32 v10, 0x400, v52
	ds_write2_b32 v10, v8, v9 offset0:64 offset1:104
	s_waitcnt lgkmcnt(0)
	s_barrier
	ds_read_b32 v8, v36
	ds_read_b32 v13, v36 offset:1600
	ds_read_b32 v12, v36 offset:3200
	;; [unrolled: 1-line block ×5, first 2 shown]
	s_and_saveexec_b64 s[2:3], s[4:5]
	s_cbranch_execz .LBB0_21
; %bb.20:
	ds_read_b32 v0, v36 offset:960
	ds_read_b32 v1, v36 offset:2560
	;; [unrolled: 1-line block ×6, first 2 shown]
	s_waitcnt lgkmcnt(5)
	v_lshrrev_b32_e32 v2, 16, v0
	s_waitcnt lgkmcnt(4)
	v_lshrrev_b32_e32 v4, 16, v1
	;; [unrolled: 2-line block ×6, first 2 shown]
.LBB0_21:
	s_or_b64 exec, exec, s[2:3]
	s_waitcnt lgkmcnt(4)
	v_lshrrev_b32_e32 v15, 16, v13
	v_mul_f16_sdwa v46, v21, v15 dst_sel:DWORD dst_unused:UNUSED_PAD src0_sel:WORD_1 src1_sel:DWORD
	s_waitcnt lgkmcnt(3)
	v_lshrrev_b32_e32 v28, 16, v12
	v_fma_f16 v46, v21, v13, v46
	v_mul_f16_sdwa v13, v21, v13 dst_sel:DWORD dst_unused:UNUSED_PAD src0_sel:WORD_1 src1_sel:DWORD
	v_fma_f16 v13, v21, v15, -v13
	v_mul_f16_sdwa v15, v22, v28 dst_sel:DWORD dst_unused:UNUSED_PAD src0_sel:WORD_1 src1_sel:DWORD
	s_waitcnt lgkmcnt(1)
	v_lshrrev_b32_e32 v30, 16, v10
	v_fma_f16 v15, v22, v12, v15
	v_mul_f16_sdwa v12, v22, v12 dst_sel:DWORD dst_unused:UNUSED_PAD src0_sel:WORD_1 src1_sel:DWORD
	v_lshrrev_b32_e32 v29, 16, v11
	v_fma_f16 v12, v22, v28, -v12
	v_mul_f16_sdwa v22, v24, v30 dst_sel:DWORD dst_unused:UNUSED_PAD src0_sel:WORD_1 src1_sel:DWORD
	v_mul_f16_sdwa v21, v23, v29 dst_sel:DWORD dst_unused:UNUSED_PAD src0_sel:WORD_1 src1_sel:DWORD
	v_fma_f16 v22, v24, v10, v22
	v_mul_f16_sdwa v10, v24, v10 dst_sel:DWORD dst_unused:UNUSED_PAD src0_sel:WORD_1 src1_sel:DWORD
	s_waitcnt lgkmcnt(0)
	v_lshrrev_b32_e32 v31, 16, v9
	v_fma_f16 v21, v23, v11, v21
	v_mul_f16_sdwa v11, v23, v11 dst_sel:DWORD dst_unused:UNUSED_PAD src0_sel:WORD_1 src1_sel:DWORD
	v_fma_f16 v10, v24, v30, -v10
	v_add_f16_e32 v28, v15, v22
	v_lshrrev_b32_e32 v14, 16, v8
	v_fma_f16 v11, v23, v29, -v11
	v_mul_f16_sdwa v23, v53, v31 dst_sel:DWORD dst_unused:UNUSED_PAD src0_sel:WORD_1 src1_sel:DWORD
	v_add_f16_e32 v24, v8, v15
	v_fma_f16 v8, v28, -0.5, v8
	v_sub_f16_e32 v28, v12, v10
	s_mov_b32 s6, 0xbaee
	s_movk_i32 s7, 0x3aee
	v_fma_f16 v23, v53, v9, v23
	v_mul_f16_sdwa v9, v53, v9 dst_sel:DWORD dst_unused:UNUSED_PAD src0_sel:WORD_1 src1_sel:DWORD
	v_fma_f16 v29, v28, s6, v8
	v_fma_f16 v8, v28, s7, v8
	v_add_f16_e32 v28, v14, v12
	v_fma_f16 v9, v53, v31, -v9
	v_add_f16_e32 v28, v28, v10
	v_add_f16_e32 v10, v12, v10
	v_sub_f16_e32 v12, v15, v22
	v_add_f16_e32 v15, v21, v23
	v_add_f16_e32 v24, v24, v22
	v_fma_f16 v15, v15, -0.5, v46
	v_sub_f16_e32 v22, v11, v9
	v_fma_f16 v30, v22, s6, v15
	v_fma_f16 v15, v22, s7, v15
	v_add_f16_e32 v22, v13, v11
	v_add_f16_e32 v22, v22, v9
	;; [unrolled: 1-line block ×3, first 2 shown]
	v_fma_f16 v10, v10, -0.5, v14
	v_fma_f16 v9, v9, -0.5, v13
	v_sub_f16_e32 v11, v21, v23
	v_fma_f16 v14, v12, s7, v10
	v_fma_f16 v10, v12, s6, v10
	v_add_f16_e32 v12, v46, v21
	v_fma_f16 v13, v11, s7, v9
	v_fma_f16 v9, v11, s6, v9
	v_add_f16_e32 v12, v12, v23
	v_mul_f16_e32 v21, 0xbaee, v13
	v_mul_f16_e32 v31, 0xbaee, v9
	v_mul_f16_e32 v13, 0.5, v13
	v_mul_f16_e32 v9, -0.5, v9
	v_add_f16_e32 v11, v24, v12
	v_fma_f16 v21, v30, 0.5, v21
	v_add_f16_e32 v47, v28, v22
	v_fma_f16 v13, v30, s7, v13
	v_fma_f16 v9, v15, s7, v9
	v_add_f16_e32 v23, v29, v21
	v_fma_f16 v31, v15, -0.5, v31
	v_add_f16_e32 v30, v14, v13
	v_add_f16_e32 v15, v10, v9
	v_sub_f16_e32 v9, v10, v9
	v_pack_b32_f16 v10, v11, v47
	v_add_f16_e32 v46, v8, v31
	ds_write_b32 v36, v10
	v_pack_b32_f16 v10, v23, v30
	v_sub_f16_e32 v12, v24, v12
	v_sub_f16_e32 v22, v28, v22
	ds_write_b32 v36, v10 offset:1600
	v_pack_b32_f16 v10, v46, v15
	v_sub_f16_e32 v21, v29, v21
	v_sub_f16_e32 v8, v8, v31
	;; [unrolled: 1-line block ×3, first 2 shown]
	ds_write_b32 v36, v10 offset:3200
	v_pack_b32_f16 v10, v12, v22
	ds_write_b32 v36, v10 offset:4800
	v_pack_b32_f16 v10, v21, v13
	v_pack_b32_f16 v8, v8, v9
	ds_write_b32 v36, v10 offset:6400
	ds_write_b32 v36, v8 offset:8000
	s_and_saveexec_b64 s[2:3], s[4:5]
	s_cbranch_execz .LBB0_23
; %bb.22:
	v_mul_f16_sdwa v14, v19, v6 dst_sel:DWORD dst_unused:UNUSED_PAD src0_sel:WORD_1 src1_sel:DWORD
	v_fma_f16 v14, v19, v3, v14
	v_mul_f16_sdwa v3, v19, v3 dst_sel:DWORD dst_unused:UNUSED_PAD src0_sel:WORD_1 src1_sel:DWORD
	v_mul_f16_sdwa v8, v18, v5 dst_sel:DWORD dst_unused:UNUSED_PAD src0_sel:WORD_1 src1_sel:DWORD
	;; [unrolled: 1-line block ×3, first 2 shown]
	v_fma_f16 v3, v19, v6, -v3
	v_mul_f16_sdwa v6, v16, v32 dst_sel:DWORD dst_unused:UNUSED_PAD src0_sel:WORD_1 src1_sel:DWORD
	v_fma_f16 v8, v18, v7, -v8
	v_mul_f16_sdwa v7, v18, v7 dst_sel:DWORD dst_unused:UNUSED_PAD src0_sel:WORD_1 src1_sel:DWORD
	v_fma_f16 v13, v17, v1, v13
	v_fma_f16 v6, v16, v33, -v6
	v_mul_f16_sdwa v1, v17, v1 dst_sel:DWORD dst_unused:UNUSED_PAD src0_sel:WORD_1 src1_sel:DWORD
	v_mul_f16_sdwa v9, v20, v34 dst_sel:DWORD dst_unused:UNUSED_PAD src0_sel:WORD_1 src1_sel:DWORD
	v_fma_f16 v5, v18, v5, v7
	v_mul_f16_sdwa v7, v20, v35 dst_sel:DWORD dst_unused:UNUSED_PAD src0_sel:WORD_1 src1_sel:DWORD
	v_mul_f16_sdwa v15, v16, v33 dst_sel:DWORD dst_unused:UNUSED_PAD src0_sel:WORD_1 src1_sel:DWORD
	v_fma_f16 v1, v17, v4, -v1
	v_add_f16_e32 v4, v6, v3
	v_fma_f16 v9, v20, v35, -v9
	v_fma_f16 v7, v20, v34, v7
	v_fma_f16 v15, v16, v32, v15
	v_fma_f16 v4, v4, -0.5, v1
	v_add_f16_e32 v1, v3, v1
	v_add_f16_e32 v10, v9, v8
	;; [unrolled: 1-line block ×3, first 2 shown]
	v_sub_f16_e32 v16, v3, v6
	v_sub_f16_e32 v17, v14, v15
	v_add_f16_e32 v1, v6, v1
	v_add_f16_e32 v6, v7, v5
	v_fma_f16 v10, v10, -0.5, v2
	v_sub_f16_e32 v11, v5, v7
	v_fma_f16 v18, v18, -0.5, v13
	v_fma_f16 v20, v17, s6, v4
	v_fma_f16 v4, v17, s7, v4
	v_add_f16_e32 v2, v8, v2
	v_fma_f16 v6, v6, -0.5, v0
	v_add_f16_e32 v0, v5, v0
	v_add_f16_e32 v5, v14, v13
	v_fma_f16 v12, v11, s6, v10
	v_fma_f16 v19, v16, s7, v18
	;; [unrolled: 1-line block ×4, first 2 shown]
	v_mul_f16_e32 v16, 0.5, v4
	v_add_f16_e32 v2, v9, v2
	v_sub_f16_e32 v8, v8, v9
	v_mul_f16_e32 v4, 0xbaee, v4
	v_add_f16_e32 v0, v7, v0
	v_add_f16_e32 v5, v15, v5
	v_mul_f16_e32 v21, -0.5, v20
	v_fma_f16 v16, v11, s7, v16
	v_sub_f16_e32 v3, v2, v1
	v_fma_f16 v9, v8, s7, v6
	v_mul_f16_e32 v18, 0xbaee, v20
	v_fma_f16 v6, v8, s6, v6
	v_fma_f16 v4, v11, 0.5, v4
	v_sub_f16_e32 v7, v0, v5
	v_add_f16_e32 v1, v2, v1
	v_add_f16_e32 v0, v0, v5
	v_fma_f16 v21, v19, s7, v21
	v_sub_f16_e32 v17, v10, v16
	v_fma_f16 v18, v19, -0.5, v18
	v_sub_f16_e32 v8, v6, v4
	v_add_f16_e32 v10, v10, v16
	v_add_f16_e32 v4, v6, v4
	v_pack_b32_f16 v0, v0, v1
	v_add_f16_e32 v11, v12, v21
	v_add_f16_e32 v2, v9, v18
	ds_write_b32 v36, v0 offset:960
	v_pack_b32_f16 v0, v4, v10
	ds_write_b32 v36, v0 offset:2560
	v_pack_b32_f16 v0, v2, v11
	;; [unrolled: 2-line block ×3, first 2 shown]
	v_sub_f16_e32 v22, v12, v21
	v_sub_f16_e32 v19, v9, v18
	ds_write_b32 v36, v0 offset:5760
	v_pack_b32_f16 v0, v8, v17
	ds_write_b32 v36, v0 offset:7360
	v_pack_b32_f16 v0, v19, v22
	ds_write_b32 v36, v0 offset:8960
.LBB0_23:
	s_or_b64 exec, exec, s[2:3]
	s_waitcnt lgkmcnt(0)
	s_barrier
	ds_read2_b32 v[0:1], v36 offset1:240
	s_mov_b32 s6, 0xb4e81b4f
	s_mov_b32 s7, 0x3f3b4e81
	v_mad_u64_u32 v[4:5], s[2:3], s10, v27, 0
	s_waitcnt lgkmcnt(0)
	v_lshrrev_b32_e32 v7, 16, v0
	v_mul_f16_sdwa v2, v45, v7 dst_sel:DWORD dst_unused:UNUSED_PAD src0_sel:WORD_1 src1_sel:DWORD
	v_fma_f16 v2, v45, v0, v2
	v_cvt_f32_f16_e32 v2, v2
	s_movk_i32 s14, 0x1ff
	v_mad_u64_u32 v[5:6], s[2:3], s11, v27, v[5:6]
	v_cvt_f64_f32_e32 v[2:3], v2
	s_movk_i32 s15, 0xffe
	v_mul_f16_sdwa v0, v45, v0 dst_sel:DWORD dst_unused:UNUSED_PAD src0_sel:WORD_1 src1_sel:DWORD
	v_fma_f16 v0, v45, v7, -v0
	v_mul_f64 v[2:3], v[2:3], s[6:7]
	v_cvt_f32_f16_e32 v0, v0
	s_movk_i32 s16, 0x40f
	s_mov_b32 s17, 0x8000
	v_lshlrev_b64 v[4:5], 2, v[4:5]
	s_movk_i32 s18, 0x1000
	v_and_or_b32 v2, v3, s14, v2
	v_cmp_ne_u32_e32 vcc, 0, v2
	v_lshrrev_b32_e32 v6, 8, v3
	v_bfe_u32 v8, v3, 20, 11
	v_cndmask_b32_e64 v2, 0, 1, vcc
	v_and_or_b32 v2, v6, s15, v2
	v_sub_u32_e32 v9, 0x3f1, v8
	v_or_b32_e32 v6, 0x1000, v2
	v_med3_i32 v9, v9, 0, 13
	v_lshrrev_b32_e32 v10, v9, v6
	v_lshlrev_b32_e32 v9, v9, v10
	v_cmp_ne_u32_e32 vcc, v9, v6
	v_cndmask_b32_e64 v6, 0, 1, vcc
	v_add_u32_e32 v9, 0xfffffc10, v8
	v_or_b32_e32 v6, v10, v6
	v_lshl_or_b32 v8, v9, 12, v2
	v_cmp_gt_i32_e32 vcc, 1, v9
	v_cndmask_b32_e32 v6, v8, v6, vcc
	v_and_b32_e32 v8, 7, v6
	v_cmp_lt_i32_e32 vcc, 5, v8
	v_cmp_eq_u32_e64 s[2:3], 3, v8
	v_cvt_f64_f32_e32 v[7:8], v0
	v_lshrrev_b32_e32 v6, 2, v6
	s_or_b64 vcc, s[2:3], vcc
	v_addc_co_u32_e32 v10, vcc, 0, v6, vcc
	v_mul_f64 v[7:8], v[7:8], s[6:7]
	v_mov_b32_e32 v6, 0x7c00
	v_cmp_gt_i32_e32 vcc, 31, v9
	v_cndmask_b32_e32 v0, v6, v10, vcc
	v_cmp_ne_u32_e32 vcc, 0, v2
	v_cndmask_b32_e64 v2, 0, 1, vcc
	v_lshl_or_b32 v2, v2, 9, v6
	v_cmp_eq_u32_e32 vcc, s16, v9
	v_cndmask_b32_e32 v0, v0, v2, vcc
	v_lshrrev_b32_e32 v2, 16, v3
	v_and_or_b32 v11, v2, s17, v0
	v_and_or_b32 v0, v8, s14, v7
	v_cmp_ne_u32_e32 vcc, 0, v0
	v_cndmask_b32_e64 v0, 0, 1, vcc
	v_lshrrev_b32_e32 v2, 8, v8
	v_bfe_u32 v3, v8, 20, 11
	v_and_or_b32 v0, v2, s15, v0
	v_sub_u32_e32 v7, 0x3f1, v3
	v_or_b32_e32 v2, 0x1000, v0
	v_med3_i32 v7, v7, 0, 13
	v_lshrrev_b32_e32 v9, v7, v2
	v_lshlrev_b32_e32 v7, v7, v9
	v_cmp_ne_u32_e32 vcc, v7, v2
	v_cndmask_b32_e64 v2, 0, 1, vcc
	v_add_u32_e32 v3, 0xfffffc10, v3
	v_or_b32_e32 v2, v9, v2
	v_lshl_or_b32 v7, v3, 12, v0
	v_cmp_gt_i32_e32 vcc, 1, v3
	v_cndmask_b32_e32 v2, v7, v2, vcc
	v_and_b32_e32 v7, 7, v2
	v_cmp_lt_i32_e32 vcc, 5, v7
	v_cmp_eq_u32_e64 s[2:3], 3, v7
	v_lshrrev_b32_e32 v2, 2, v2
	s_or_b64 vcc, s[2:3], vcc
	v_addc_co_u32_e32 v2, vcc, 0, v2, vcc
	v_cmp_gt_i32_e32 vcc, 31, v3
	v_cndmask_b32_e32 v2, v6, v2, vcc
	v_cmp_ne_u32_e32 vcc, 0, v0
	v_cndmask_b32_e64 v0, 0, 1, vcc
	v_lshl_or_b32 v0, v0, 9, v6
	v_cmp_eq_u32_e32 vcc, s16, v3
	v_cndmask_b32_e32 v12, v2, v0, vcc
	v_add_u32_e32 v0, 0x940, v36
	v_mad_u64_u32 v[9:10], s[2:3], s8, v43, 0
	ds_read2_b32 v[2:3], v0 offset0:8 offset1:248
	v_lshrrev_b32_e32 v13, 16, v8
	v_mov_b32_e32 v0, v10
	v_mad_u64_u32 v[7:8], s[2:3], s9, v43, v[0:1]
	s_waitcnt lgkmcnt(0)
	v_lshrrev_b32_e32 v0, 16, v2
	v_mul_f16_sdwa v8, v44, v0 dst_sel:DWORD dst_unused:UNUSED_PAD src0_sel:WORD_1 src1_sel:DWORD
	v_fma_f16 v8, v44, v2, v8
	v_cvt_f32_f16_e32 v8, v8
	v_mov_b32_e32 v10, v7
	v_and_or_b32 v12, v13, s17, v12
	v_and_b32_e32 v11, 0xffff, v11
	v_cvt_f64_f32_e32 v[7:8], v8
	v_lshl_or_b32 v11, v12, 16, v11
	v_mov_b32_e32 v12, s13
	v_add_co_u32_e32 v13, vcc, s12, v4
	v_mul_f64 v[7:8], v[7:8], s[6:7]
	v_addc_co_u32_e32 v12, vcc, v12, v5, vcc
	v_lshlrev_b64 v[4:5], 2, v[9:10]
	v_mul_f16_sdwa v2, v44, v2 dst_sel:DWORD dst_unused:UNUSED_PAD src0_sel:WORD_1 src1_sel:DWORD
	v_add_co_u32_e32 v9, vcc, v13, v4
	v_addc_co_u32_e32 v10, vcc, v12, v5, vcc
	v_and_or_b32 v4, v8, s14, v7
	v_cmp_ne_u32_e32 vcc, 0, v4
	v_cndmask_b32_e64 v4, 0, 1, vcc
	v_lshrrev_b32_e32 v5, 8, v8
	v_and_or_b32 v7, v5, s15, v4
	v_bfe_u32 v5, v8, 20, 11
	global_store_dword v[9:10], v11, off
	v_sub_u32_e32 v11, 0x3f1, v5
	v_or_b32_e32 v4, 0x1000, v7
	v_med3_i32 v11, v11, 0, 13
	v_lshrrev_b32_e32 v12, v11, v4
	v_lshlrev_b32_e32 v11, v11, v12
	v_cmp_ne_u32_e32 vcc, v11, v4
	v_fma_f16 v0, v44, v0, -v2
	v_cndmask_b32_e64 v4, 0, 1, vcc
	v_add_u32_e32 v13, 0xfffffc10, v5
	v_cvt_f32_f16_e32 v0, v0
	v_or_b32_e32 v4, v12, v4
	v_lshl_or_b32 v5, v13, 12, v7
	v_cmp_gt_i32_e32 vcc, 1, v13
	v_cndmask_b32_e32 v4, v5, v4, vcc
	v_and_b32_e32 v5, 7, v4
	v_cmp_lt_i32_e32 vcc, 5, v5
	v_cmp_eq_u32_e64 s[2:3], 3, v5
	v_lshrrev_b32_e32 v2, 2, v4
	v_cvt_f64_f32_e32 v[4:5], v0
	s_or_b64 vcc, s[2:3], vcc
	v_addc_co_u32_e32 v0, vcc, 0, v2, vcc
	v_mul_f64 v[11:12], v[4:5], s[6:7]
	v_cmp_gt_i32_e32 vcc, 31, v13
	v_cndmask_b32_e32 v0, v6, v0, vcc
	v_cmp_ne_u32_e32 vcc, 0, v7
	v_cndmask_b32_e64 v2, 0, 1, vcc
	v_lshl_or_b32 v2, v2, 9, v6
	v_cmp_eq_u32_e32 vcc, s16, v13
	v_cndmask_b32_e32 v0, v0, v2, vcc
	v_lshrrev_b32_e32 v2, 16, v8
	v_and_or_b32 v0, v2, s17, v0
	v_and_or_b32 v2, v12, s14, v11
	v_cmp_ne_u32_e32 vcc, 0, v2
	v_cndmask_b32_e64 v2, 0, 1, vcc
	v_lshrrev_b32_e32 v4, 8, v12
	v_bfe_u32 v5, v12, 20, 11
	v_and_or_b32 v2, v4, s15, v2
	v_sub_u32_e32 v7, 0x3f1, v5
	v_or_b32_e32 v4, 0x1000, v2
	v_med3_i32 v7, v7, 0, 13
	v_lshrrev_b32_e32 v8, v7, v4
	v_lshlrev_b32_e32 v7, v7, v8
	v_cmp_ne_u32_e32 vcc, v7, v4
	v_cndmask_b32_e64 v4, 0, 1, vcc
	v_add_u32_e32 v7, 0xfffffc10, v5
	v_or_b32_e32 v4, v8, v4
	v_lshl_or_b32 v5, v7, 12, v2
	v_cmp_gt_i32_e32 vcc, 1, v7
	v_cndmask_b32_e32 v4, v5, v4, vcc
	v_and_b32_e32 v5, 7, v4
	v_cmp_lt_i32_e32 vcc, 5, v5
	v_cmp_eq_u32_e64 s[2:3], 3, v5
	v_lshrrev_b32_e32 v4, 2, v4
	s_or_b64 vcc, s[2:3], vcc
	v_addc_co_u32_e32 v4, vcc, 0, v4, vcc
	v_cmp_gt_i32_e32 vcc, 31, v7
	v_cndmask_b32_e32 v8, v6, v4, vcc
	v_add_u32_e32 v4, 0x12c0, v36
	ds_read2_b32 v[4:5], v4 offset1:240
	v_cmp_ne_u32_e32 vcc, 0, v2
	v_cndmask_b32_e64 v2, 0, 1, vcc
	v_lshl_or_b32 v2, v2, 9, v6
	v_cmp_eq_u32_e32 vcc, s16, v7
	v_cndmask_b32_e32 v2, v8, v2, vcc
	v_lshrrev_b32_e32 v7, 16, v12
	s_waitcnt lgkmcnt(0)
	v_lshrrev_b32_e32 v11, 16, v4
	v_and_or_b32 v2, v7, s17, v2
	v_mul_f16_sdwa v7, v42, v11 dst_sel:DWORD dst_unused:UNUSED_PAD src0_sel:WORD_1 src1_sel:DWORD
	v_fma_f16 v7, v42, v4, v7
	v_cvt_f32_f16_e32 v7, v7
	s_mul_i32 s2, s9, 0x258
	s_mul_hi_u32 s3, s8, 0x258
	s_add_i32 s3, s3, s2
	v_cvt_f64_f32_e32 v[7:8], v7
	s_mul_i32 s2, s8, 0x258
	v_and_b32_e32 v0, 0xffff, v0
	s_lshl_b64 s[10:11], s[2:3], 2
	v_mul_f64 v[7:8], v[7:8], s[6:7]
	v_lshl_or_b32 v0, v2, 16, v0
	v_mov_b32_e32 v2, s11
	v_add_co_u32_e32 v9, vcc, s10, v9
	v_addc_co_u32_e32 v10, vcc, v10, v2, vcc
	global_store_dword v[9:10], v0, off
	v_and_or_b32 v0, v8, s14, v7
	v_cmp_ne_u32_e32 vcc, 0, v0
	v_cndmask_b32_e64 v0, 0, 1, vcc
	v_lshrrev_b32_e32 v7, 8, v8
	v_bfe_u32 v12, v8, 20, 11
	v_and_or_b32 v0, v7, s15, v0
	v_sub_u32_e32 v13, 0x3f1, v12
	v_or_b32_e32 v7, 0x1000, v0
	v_med3_i32 v13, v13, 0, 13
	v_lshrrev_b32_e32 v14, v13, v7
	v_lshlrev_b32_e32 v13, v13, v14
	v_mul_f16_sdwa v4, v42, v4 dst_sel:DWORD dst_unused:UNUSED_PAD src0_sel:WORD_1 src1_sel:DWORD
	v_cmp_ne_u32_e32 vcc, v13, v7
	v_fma_f16 v4, v42, v11, -v4
	v_cndmask_b32_e64 v7, 0, 1, vcc
	v_add_u32_e32 v13, 0xfffffc10, v12
	v_cvt_f32_f16_e32 v4, v4
	v_or_b32_e32 v7, v14, v7
	v_lshl_or_b32 v12, v13, 12, v0
	v_cmp_gt_i32_e32 vcc, 1, v13
	v_cndmask_b32_e32 v7, v12, v7, vcc
	v_and_b32_e32 v12, 7, v7
	v_cmp_lt_i32_e32 vcc, 5, v12
	v_cmp_eq_u32_e64 s[2:3], 3, v12
	v_cvt_f64_f32_e32 v[11:12], v4
	v_lshrrev_b32_e32 v7, 2, v7
	s_or_b64 vcc, s[2:3], vcc
	v_addc_co_u32_e32 v4, vcc, 0, v7, vcc
	v_mul_f64 v[11:12], v[11:12], s[6:7]
	v_cmp_gt_i32_e32 vcc, 31, v13
	v_cndmask_b32_e32 v4, v6, v4, vcc
	v_cmp_ne_u32_e32 vcc, 0, v0
	v_cndmask_b32_e64 v0, 0, 1, vcc
	v_lshl_or_b32 v0, v0, 9, v6
	v_cmp_eq_u32_e32 vcc, s16, v13
	v_cndmask_b32_e32 v0, v4, v0, vcc
	v_lshrrev_b32_e32 v4, 16, v8
	v_and_or_b32 v0, v4, s17, v0
	v_and_or_b32 v4, v12, s14, v11
	v_cmp_ne_u32_e32 vcc, 0, v4
	v_cndmask_b32_e64 v4, 0, 1, vcc
	v_lshrrev_b32_e32 v7, 8, v12
	v_bfe_u32 v8, v12, 20, 11
	v_and_or_b32 v4, v7, s15, v4
	v_sub_u32_e32 v11, 0x3f1, v8
	v_or_b32_e32 v7, 0x1000, v4
	v_med3_i32 v11, v11, 0, 13
	v_lshrrev_b32_e32 v13, v11, v7
	v_lshlrev_b32_e32 v11, v11, v13
	v_cmp_ne_u32_e32 vcc, v11, v7
	v_cndmask_b32_e64 v7, 0, 1, vcc
	v_add_u32_e32 v11, 0xfffffc10, v8
	v_or_b32_e32 v7, v13, v7
	v_lshl_or_b32 v8, v11, 12, v4
	v_cmp_gt_i32_e32 vcc, 1, v11
	v_cndmask_b32_e32 v7, v8, v7, vcc
	v_and_b32_e32 v8, 7, v7
	v_lshrrev_b32_e32 v13, 2, v7
	v_add_u32_e32 v7, 0x1c00, v36
	v_cmp_lt_i32_e32 vcc, 5, v8
	v_cmp_eq_u32_e64 s[2:3], 3, v8
	ds_read2_b32 v[7:8], v7 offset0:8 offset1:248
	s_or_b64 vcc, s[2:3], vcc
	v_addc_co_u32_e32 v13, vcc, 0, v13, vcc
	v_cmp_gt_i32_e32 vcc, 31, v11
	s_waitcnt lgkmcnt(0)
	v_lshrrev_b32_e32 v16, 16, v7
	v_cndmask_b32_e32 v15, v6, v13, vcc
	v_mul_f16_sdwa v13, v41, v16 dst_sel:DWORD dst_unused:UNUSED_PAD src0_sel:WORD_1 src1_sel:DWORD
	v_fma_f16 v13, v41, v7, v13
	v_cvt_f32_f16_e32 v13, v13
	v_cmp_ne_u32_e32 vcc, 0, v4
	v_cndmask_b32_e64 v4, 0, 1, vcc
	v_lshl_or_b32 v4, v4, 9, v6
	v_cvt_f64_f32_e32 v[13:14], v13
	v_cmp_eq_u32_e32 vcc, s16, v11
	v_cndmask_b32_e32 v4, v15, v4, vcc
	v_lshrrev_b32_e32 v11, 16, v12
	v_and_or_b32 v4, v11, s17, v4
	v_mul_f64 v[11:12], v[13:14], s[6:7]
	v_and_b32_e32 v0, 0xffff, v0
	v_add_co_u32_e32 v9, vcc, s10, v9
	v_lshl_or_b32 v0, v4, 16, v0
	v_addc_co_u32_e32 v10, vcc, v10, v2, vcc
	global_store_dword v[9:10], v0, off
	v_and_or_b32 v0, v12, s14, v11
	v_cmp_ne_u32_e32 vcc, 0, v0
	v_cndmask_b32_e64 v0, 0, 1, vcc
	v_lshrrev_b32_e32 v4, 8, v12
	v_bfe_u32 v11, v12, 20, 11
	v_and_or_b32 v0, v4, s15, v0
	v_sub_u32_e32 v13, 0x3f1, v11
	v_or_b32_e32 v4, 0x1000, v0
	v_med3_i32 v13, v13, 0, 13
	v_lshrrev_b32_e32 v14, v13, v4
	v_lshlrev_b32_e32 v13, v13, v14
	v_mul_f16_sdwa v7, v41, v7 dst_sel:DWORD dst_unused:UNUSED_PAD src0_sel:WORD_1 src1_sel:DWORD
	v_cmp_ne_u32_e32 vcc, v13, v4
	v_fma_f16 v7, v41, v16, -v7
	v_cndmask_b32_e64 v4, 0, 1, vcc
	v_add_u32_e32 v11, 0xfffffc10, v11
	v_cvt_f32_f16_e32 v7, v7
	v_or_b32_e32 v4, v14, v4
	v_lshl_or_b32 v13, v11, 12, v0
	v_cmp_gt_i32_e32 vcc, 1, v11
	v_cndmask_b32_e32 v4, v13, v4, vcc
	v_and_b32_e32 v13, 7, v4
	v_cmp_lt_i32_e32 vcc, 5, v13
	v_cmp_eq_u32_e64 s[2:3], 3, v13
	v_cvt_f64_f32_e32 v[13:14], v7
	v_lshrrev_b32_e32 v4, 2, v4
	s_or_b64 vcc, s[2:3], vcc
	v_addc_co_u32_e32 v4, vcc, 0, v4, vcc
	v_mul_f64 v[13:14], v[13:14], s[6:7]
	v_cmp_gt_i32_e32 vcc, 31, v11
	v_cndmask_b32_e32 v4, v6, v4, vcc
	v_cmp_ne_u32_e32 vcc, 0, v0
	v_cndmask_b32_e64 v0, 0, 1, vcc
	v_lshl_or_b32 v0, v0, 9, v6
	v_cmp_eq_u32_e32 vcc, s16, v11
	v_cndmask_b32_e32 v0, v4, v0, vcc
	v_lshrrev_b32_e32 v4, 16, v12
	v_and_or_b32 v0, v4, s17, v0
	v_and_or_b32 v4, v14, s14, v13
	v_cmp_ne_u32_e32 vcc, 0, v4
	v_cndmask_b32_e64 v4, 0, 1, vcc
	v_lshrrev_b32_e32 v7, 8, v14
	v_bfe_u32 v11, v14, 20, 11
	v_and_or_b32 v4, v7, s15, v4
	v_sub_u32_e32 v12, 0x3f1, v11
	v_or_b32_e32 v7, 0x1000, v4
	v_med3_i32 v12, v12, 0, 13
	v_lshrrev_b32_e32 v13, v12, v7
	v_lshlrev_b32_e32 v12, v12, v13
	v_cmp_ne_u32_e32 vcc, v12, v7
	v_cndmask_b32_e64 v7, 0, 1, vcc
	v_or_b32_e32 v7, v13, v7
	v_add_u32_e32 v13, 0xfffffc10, v11
	v_lshl_or_b32 v11, v13, 12, v4
	v_cmp_gt_i32_e32 vcc, 1, v13
	v_cndmask_b32_e32 v7, v11, v7, vcc
	v_and_b32_e32 v11, 7, v7
	v_lshrrev_b32_e32 v15, 16, v1
	v_cmp_lt_i32_e32 vcc, 5, v11
	v_cmp_eq_u32_e64 s[2:3], 3, v11
	v_mul_f16_sdwa v11, v40, v15 dst_sel:DWORD dst_unused:UNUSED_PAD src0_sel:WORD_1 src1_sel:DWORD
	v_fma_f16 v11, v40, v1, v11
	v_cvt_f32_f16_e32 v11, v11
	v_lshrrev_b32_e32 v7, 2, v7
	s_or_b64 vcc, s[2:3], vcc
	v_addc_co_u32_e32 v7, vcc, 0, v7, vcc
	v_cvt_f64_f32_e32 v[11:12], v11
	v_cmp_gt_i32_e32 vcc, 31, v13
	v_cndmask_b32_e32 v7, v6, v7, vcc
	v_cmp_ne_u32_e32 vcc, 0, v4
	v_mul_f64 v[11:12], v[11:12], s[6:7]
	v_cndmask_b32_e64 v4, 0, 1, vcc
	v_lshl_or_b32 v4, v4, 9, v6
	v_cmp_eq_u32_e32 vcc, s16, v13
	v_cndmask_b32_e32 v4, v7, v4, vcc
	v_lshrrev_b32_e32 v7, 16, v14
	v_and_or_b32 v4, v7, s17, v4
	v_and_b32_e32 v0, 0xffff, v0
	v_add_co_u32_e32 v9, vcc, s10, v9
	v_lshl_or_b32 v0, v4, 16, v0
	v_addc_co_u32_e32 v10, vcc, v10, v2, vcc
	global_store_dword v[9:10], v0, off
	v_and_or_b32 v0, v12, s14, v11
	v_cmp_ne_u32_e32 vcc, 0, v0
	v_cndmask_b32_e64 v0, 0, 1, vcc
	v_lshrrev_b32_e32 v4, 8, v12
	v_bfe_u32 v7, v12, 20, 11
	v_and_or_b32 v4, v4, s15, v0
	v_sub_u32_e32 v11, 0x3f1, v7
	v_or_b32_e32 v0, 0x1000, v4
	v_med3_i32 v11, v11, 0, 13
	v_lshrrev_b32_e32 v13, v11, v0
	v_lshlrev_b32_e32 v11, v11, v13
	v_mul_f16_sdwa v1, v40, v1 dst_sel:DWORD dst_unused:UNUSED_PAD src0_sel:WORD_1 src1_sel:DWORD
	v_cmp_ne_u32_e32 vcc, v11, v0
	v_fma_f16 v1, v40, v15, -v1
	v_cndmask_b32_e64 v0, 0, 1, vcc
	v_add_u32_e32 v7, 0xfffffc10, v7
	v_cvt_f32_f16_e32 v1, v1
	v_or_b32_e32 v0, v13, v0
	v_lshl_or_b32 v11, v7, 12, v4
	v_cmp_gt_i32_e32 vcc, 1, v7
	v_cndmask_b32_e32 v0, v11, v0, vcc
	v_and_b32_e32 v11, 7, v0
	v_cmp_lt_i32_e32 vcc, 5, v11
	v_cmp_eq_u32_e64 s[2:3], 3, v11
	v_lshrrev_b32_e32 v11, 2, v0
	v_cvt_f64_f32_e32 v[0:1], v1
	s_or_b64 vcc, s[2:3], vcc
	v_addc_co_u32_e32 v11, vcc, 0, v11, vcc
	v_mul_f64 v[0:1], v[0:1], s[6:7]
	v_cmp_gt_i32_e32 vcc, 31, v7
	v_cndmask_b32_e32 v11, v6, v11, vcc
	v_cmp_ne_u32_e32 vcc, 0, v4
	v_cndmask_b32_e64 v4, 0, 1, vcc
	v_lshl_or_b32 v4, v4, 9, v6
	v_cmp_eq_u32_e32 vcc, s16, v7
	v_cndmask_b32_e32 v4, v11, v4, vcc
	v_and_or_b32 v0, v1, s14, v0
	v_lshrrev_b32_e32 v7, 16, v12
	v_cmp_ne_u32_e32 vcc, 0, v0
	v_and_or_b32 v4, v7, s17, v4
	v_cndmask_b32_e64 v0, 0, 1, vcc
	v_lshrrev_b32_e32 v7, 8, v1
	v_bfe_u32 v11, v1, 20, 11
	v_and_or_b32 v0, v7, s15, v0
	v_sub_u32_e32 v12, 0x3f1, v11
	v_or_b32_e32 v7, 0x1000, v0
	v_med3_i32 v12, v12, 0, 13
	v_lshrrev_b32_e32 v13, v12, v7
	v_lshlrev_b32_e32 v12, v12, v13
	v_cmp_ne_u32_e32 vcc, v12, v7
	v_cndmask_b32_e64 v7, 0, 1, vcc
	v_add_u32_e32 v11, 0xfffffc10, v11
	v_or_b32_e32 v7, v13, v7
	v_lshl_or_b32 v12, v11, 12, v0
	v_cmp_gt_i32_e32 vcc, 1, v11
	v_cndmask_b32_e32 v7, v12, v7, vcc
	v_and_b32_e32 v12, 7, v7
	v_cmp_lt_i32_e32 vcc, 5, v12
	v_cmp_eq_u32_e64 s[2:3], 3, v12
	v_lshrrev_b32_e32 v7, 2, v7
	s_or_b64 vcc, s[2:3], vcc
	v_addc_co_u32_e32 v7, vcc, 0, v7, vcc
	v_cmp_gt_i32_e32 vcc, 31, v11
	v_cndmask_b32_e32 v7, v6, v7, vcc
	v_cmp_ne_u32_e32 vcc, 0, v0
	v_cndmask_b32_e64 v0, 0, 1, vcc
	v_lshl_or_b32 v0, v0, 9, v6
	v_cmp_eq_u32_e32 vcc, s16, v11
	v_cndmask_b32_e32 v0, v7, v0, vcc
	v_lshrrev_b32_e32 v1, 16, v1
	v_lshrrev_b32_e32 v11, 16, v3
	v_and_or_b32 v7, v1, s17, v0
	v_mul_f16_sdwa v0, v39, v11 dst_sel:DWORD dst_unused:UNUSED_PAD src0_sel:WORD_1 src1_sel:DWORD
	v_fma_f16 v0, v39, v3, v0
	v_cvt_f32_f16_e32 v0, v0
	s_mul_hi_u32 s3, s8, 0xfffff9e8
	s_mul_i32 s2, s9, 0xfffff9e8
	s_sub_i32 s3, s3, s8
	v_cvt_f64_f32_e32 v[0:1], v0
	s_add_i32 s3, s3, s2
	s_mul_i32 s2, s8, 0xfffff9e8
	v_and_b32_e32 v4, 0xffff, v4
	v_mul_f64 v[0:1], v[0:1], s[6:7]
	s_lshl_b64 s[4:5], s[2:3], 2
	v_lshl_or_b32 v4, v7, 16, v4
	v_mov_b32_e32 v7, s5
	v_add_co_u32_e32 v9, vcc, s4, v9
	v_addc_co_u32_e32 v10, vcc, v10, v7, vcc
	v_and_or_b32 v0, v1, s14, v0
	v_cmp_ne_u32_e32 vcc, 0, v0
	global_store_dword v[9:10], v4, off
	v_cndmask_b32_e64 v0, 0, 1, vcc
	v_lshrrev_b32_e32 v4, 8, v1
	v_bfe_u32 v7, v1, 20, 11
	v_and_or_b32 v0, v4, s15, v0
	v_sub_u32_e32 v12, 0x3f1, v7
	v_or_b32_e32 v4, 0x1000, v0
	v_med3_i32 v12, v12, 0, 13
	v_lshrrev_b32_e32 v13, v12, v4
	v_mul_f16_sdwa v3, v39, v3 dst_sel:DWORD dst_unused:UNUSED_PAD src0_sel:WORD_1 src1_sel:DWORD
	v_lshlrev_b32_e32 v12, v12, v13
	v_fma_f16 v3, v39, v11, -v3
	v_cmp_ne_u32_e32 vcc, v12, v4
	v_cvt_f32_f16_e32 v3, v3
	v_cndmask_b32_e64 v4, 0, 1, vcc
	v_add_u32_e32 v7, 0xfffffc10, v7
	v_or_b32_e32 v4, v13, v4
	v_lshl_or_b32 v12, v7, 12, v0
	v_cmp_gt_i32_e32 vcc, 1, v7
	v_cndmask_b32_e32 v4, v12, v4, vcc
	v_and_b32_e32 v12, 7, v4
	v_lshrrev_b32_e32 v11, 2, v4
	v_cvt_f64_f32_e32 v[3:4], v3
	v_cmp_lt_i32_e32 vcc, 5, v12
	v_cmp_eq_u32_e64 s[2:3], 3, v12
	s_or_b64 vcc, s[2:3], vcc
	v_mul_f64 v[3:4], v[3:4], s[6:7]
	v_addc_co_u32_e32 v11, vcc, 0, v11, vcc
	v_cmp_gt_i32_e32 vcc, 31, v7
	v_cndmask_b32_e32 v11, v6, v11, vcc
	v_cmp_ne_u32_e32 vcc, 0, v0
	v_cndmask_b32_e64 v0, 0, 1, vcc
	v_lshl_or_b32 v0, v0, 9, v6
	v_cmp_eq_u32_e32 vcc, s16, v7
	v_cndmask_b32_e32 v0, v11, v0, vcc
	v_lshrrev_b32_e32 v1, 16, v1
	v_and_or_b32 v7, v1, s17, v0
	v_and_or_b32 v0, v4, s14, v3
	v_cmp_ne_u32_e32 vcc, 0, v0
	v_cndmask_b32_e64 v0, 0, 1, vcc
	v_lshrrev_b32_e32 v1, 8, v4
	v_bfe_u32 v3, v4, 20, 11
	v_and_or_b32 v0, v1, s15, v0
	v_sub_u32_e32 v11, 0x3f1, v3
	v_or_b32_e32 v1, 0x1000, v0
	v_med3_i32 v11, v11, 0, 13
	v_lshrrev_b32_e32 v12, v11, v1
	v_lshlrev_b32_e32 v11, v11, v12
	v_cmp_ne_u32_e32 vcc, v11, v1
	v_cndmask_b32_e64 v1, 0, 1, vcc
	v_add_u32_e32 v3, 0xfffffc10, v3
	v_or_b32_e32 v1, v12, v1
	v_lshl_or_b32 v11, v3, 12, v0
	v_cmp_gt_i32_e32 vcc, 1, v3
	v_cndmask_b32_e32 v1, v11, v1, vcc
	v_and_b32_e32 v11, 7, v1
	v_cmp_lt_i32_e32 vcc, 5, v11
	v_cmp_eq_u32_e64 s[2:3], 3, v11
	v_lshrrev_b32_e32 v1, 2, v1
	s_or_b64 vcc, s[2:3], vcc
	v_addc_co_u32_e32 v1, vcc, 0, v1, vcc
	v_cmp_gt_i32_e32 vcc, 31, v3
	v_lshrrev_b32_e32 v12, 16, v5
	v_cndmask_b32_e32 v11, v6, v1, vcc
	v_mul_f16_sdwa v1, v38, v12 dst_sel:DWORD dst_unused:UNUSED_PAD src0_sel:WORD_1 src1_sel:DWORD
	v_fma_f16 v1, v38, v5, v1
	v_cvt_f32_f16_e32 v1, v1
	v_cmp_ne_u32_e32 vcc, 0, v0
	v_cndmask_b32_e64 v0, 0, 1, vcc
	v_lshl_or_b32 v13, v0, 9, v6
	v_cvt_f64_f32_e32 v[0:1], v1
	v_cmp_eq_u32_e32 vcc, s16, v3
	v_cndmask_b32_e32 v3, v11, v13, vcc
	v_lshrrev_b32_e32 v4, 16, v4
	v_mul_f64 v[0:1], v[0:1], s[6:7]
	v_and_or_b32 v3, v4, s17, v3
	v_and_b32_e32 v4, 0xffff, v7
	v_lshl_or_b32 v7, v3, 16, v4
	v_add_co_u32_e32 v3, vcc, s10, v9
	v_addc_co_u32_e32 v4, vcc, v10, v2, vcc
	v_and_or_b32 v0, v1, s14, v0
	v_cmp_ne_u32_e32 vcc, 0, v0
	global_store_dword v[3:4], v7, off
	v_cndmask_b32_e64 v0, 0, 1, vcc
	v_lshrrev_b32_e32 v7, 8, v1
	v_bfe_u32 v9, v1, 20, 11
	v_and_or_b32 v0, v7, s15, v0
	v_sub_u32_e32 v10, 0x3f1, v9
	v_or_b32_e32 v7, 0x1000, v0
	v_med3_i32 v10, v10, 0, 13
	v_lshrrev_b32_e32 v11, v10, v7
	v_lshlrev_b32_e32 v10, v10, v11
	v_cmp_ne_u32_e32 vcc, v10, v7
	v_mul_f16_sdwa v5, v38, v5 dst_sel:DWORD dst_unused:UNUSED_PAD src0_sel:WORD_1 src1_sel:DWORD
	v_cndmask_b32_e64 v7, 0, 1, vcc
	v_fma_f16 v5, v38, v12, -v5
	v_or_b32_e32 v7, v11, v7
	v_add_u32_e32 v11, 0xfffffc10, v9
	v_cvt_f32_f16_e32 v5, v5
	v_lshl_or_b32 v9, v11, 12, v0
	v_cmp_gt_i32_e32 vcc, 1, v11
	v_cndmask_b32_e32 v7, v9, v7, vcc
	v_and_b32_e32 v9, 7, v7
	v_cmp_lt_i32_e32 vcc, 5, v9
	v_cmp_eq_u32_e64 s[2:3], 3, v9
	v_cvt_f64_f32_e32 v[9:10], v5
	v_lshrrev_b32_e32 v7, 2, v7
	s_or_b64 vcc, s[2:3], vcc
	v_addc_co_u32_e32 v5, vcc, 0, v7, vcc
	v_mul_f64 v[9:10], v[9:10], s[6:7]
	v_cmp_gt_i32_e32 vcc, 31, v11
	v_cndmask_b32_e32 v5, v6, v5, vcc
	v_cmp_ne_u32_e32 vcc, 0, v0
	v_cndmask_b32_e64 v0, 0, 1, vcc
	v_lshl_or_b32 v0, v0, 9, v6
	v_cmp_eq_u32_e32 vcc, s16, v11
	v_cndmask_b32_e32 v0, v5, v0, vcc
	v_lshrrev_b32_e32 v1, 16, v1
	v_and_or_b32 v5, v1, s17, v0
	v_and_or_b32 v0, v10, s14, v9
	v_cmp_ne_u32_e32 vcc, 0, v0
	v_cndmask_b32_e64 v0, 0, 1, vcc
	v_lshrrev_b32_e32 v1, 8, v10
	v_bfe_u32 v7, v10, 20, 11
	v_and_or_b32 v0, v1, s15, v0
	v_sub_u32_e32 v9, 0x3f1, v7
	v_or_b32_e32 v1, 0x1000, v0
	v_med3_i32 v9, v9, 0, 13
	v_lshrrev_b32_e32 v11, v9, v1
	v_lshlrev_b32_e32 v9, v9, v11
	v_cmp_ne_u32_e32 vcc, v9, v1
	v_cndmask_b32_e64 v1, 0, 1, vcc
	v_add_u32_e32 v7, 0xfffffc10, v7
	v_or_b32_e32 v1, v11, v1
	v_lshl_or_b32 v9, v7, 12, v0
	v_cmp_gt_i32_e32 vcc, 1, v7
	v_cndmask_b32_e32 v1, v9, v1, vcc
	v_and_b32_e32 v9, 7, v1
	v_cmp_lt_i32_e32 vcc, 5, v9
	v_cmp_eq_u32_e64 s[2:3], 3, v9
	v_lshrrev_b32_e32 v1, 2, v1
	s_or_b64 vcc, s[2:3], vcc
	v_addc_co_u32_e32 v1, vcc, 0, v1, vcc
	v_cmp_gt_i32_e32 vcc, 31, v7
	v_lshrrev_b32_e32 v11, 16, v8
	v_cndmask_b32_e32 v9, v6, v1, vcc
	v_mul_f16_sdwa v1, v37, v11 dst_sel:DWORD dst_unused:UNUSED_PAD src0_sel:WORD_1 src1_sel:DWORD
	v_fma_f16 v1, v37, v8, v1
	v_cvt_f32_f16_e32 v1, v1
	v_cmp_ne_u32_e32 vcc, 0, v0
	v_cndmask_b32_e64 v0, 0, 1, vcc
	v_lshl_or_b32 v12, v0, 9, v6
	v_cvt_f64_f32_e32 v[0:1], v1
	v_cmp_eq_u32_e32 vcc, s16, v7
	v_cndmask_b32_e32 v7, v9, v12, vcc
	v_lshrrev_b32_e32 v9, 16, v10
	v_mul_f64 v[0:1], v[0:1], s[6:7]
	v_add_co_u32_e32 v3, vcc, s10, v3
	v_and_or_b32 v7, v9, s17, v7
	v_and_b32_e32 v5, 0xffff, v5
	v_addc_co_u32_e32 v4, vcc, v4, v2, vcc
	v_lshl_or_b32 v5, v7, 16, v5
	v_and_or_b32 v0, v1, s14, v0
	v_cmp_ne_u32_e32 vcc, 0, v0
	global_store_dword v[3:4], v5, off
	v_cndmask_b32_e64 v0, 0, 1, vcc
	v_lshrrev_b32_e32 v5, 8, v1
	v_bfe_u32 v7, v1, 20, 11
	v_and_or_b32 v0, v5, s15, v0
	v_sub_u32_e32 v9, 0x3f1, v7
	v_or_b32_e32 v5, 0x1000, v0
	v_med3_i32 v9, v9, 0, 13
	v_lshrrev_b32_e32 v10, v9, v5
	v_lshlrev_b32_e32 v9, v9, v10
	v_mul_f16_sdwa v8, v37, v8 dst_sel:DWORD dst_unused:UNUSED_PAD src0_sel:WORD_1 src1_sel:DWORD
	v_cmp_ne_u32_e32 vcc, v9, v5
	v_fma_f16 v8, v37, v11, -v8
	v_cndmask_b32_e64 v5, 0, 1, vcc
	v_add_u32_e32 v9, 0xfffffc10, v7
	v_cvt_f32_f16_e32 v8, v8
	v_or_b32_e32 v5, v10, v5
	v_lshl_or_b32 v7, v9, 12, v0
	v_cmp_gt_i32_e32 vcc, 1, v9
	v_cndmask_b32_e32 v5, v7, v5, vcc
	v_and_b32_e32 v7, 7, v5
	v_cmp_lt_i32_e32 vcc, 5, v7
	v_cmp_eq_u32_e64 s[2:3], 3, v7
	v_cvt_f64_f32_e32 v[7:8], v8
	v_lshrrev_b32_e32 v5, 2, v5
	s_or_b64 vcc, s[2:3], vcc
	v_addc_co_u32_e32 v5, vcc, 0, v5, vcc
	v_mul_f64 v[7:8], v[7:8], s[6:7]
	v_cmp_gt_i32_e32 vcc, 31, v9
	v_cndmask_b32_e32 v5, v6, v5, vcc
	v_cmp_ne_u32_e32 vcc, 0, v0
	v_cndmask_b32_e64 v0, 0, 1, vcc
	v_lshl_or_b32 v0, v0, 9, v6
	v_cmp_eq_u32_e32 vcc, s16, v9
	v_cndmask_b32_e32 v0, v5, v0, vcc
	v_lshrrev_b32_e32 v1, 16, v1
	v_and_or_b32 v0, v1, s17, v0
	v_and_or_b32 v1, v8, s14, v7
	v_cmp_ne_u32_e32 vcc, 0, v1
	v_cndmask_b32_e64 v1, 0, 1, vcc
	v_lshrrev_b32_e32 v5, 8, v8
	v_bfe_u32 v7, v8, 20, 11
	v_and_or_b32 v1, v5, s15, v1
	v_sub_u32_e32 v9, 0x3f1, v7
	v_or_b32_e32 v5, 0x1000, v1
	v_med3_i32 v9, v9, 0, 13
	v_lshrrev_b32_e32 v10, v9, v5
	v_lshlrev_b32_e32 v9, v9, v10
	v_cmp_ne_u32_e32 vcc, v9, v5
	v_cndmask_b32_e64 v5, 0, 1, vcc
	v_add_u32_e32 v7, 0xfffffc10, v7
	v_or_b32_e32 v5, v10, v5
	v_lshl_or_b32 v9, v7, 12, v1
	v_cmp_gt_i32_e32 vcc, 1, v7
	v_cndmask_b32_e32 v5, v9, v5, vcc
	v_and_b32_e32 v9, 7, v5
	v_cmp_lt_i32_e32 vcc, 5, v9
	v_cmp_eq_u32_e64 s[2:3], 3, v9
	v_lshrrev_b32_e32 v5, 2, v5
	s_or_b64 vcc, s[2:3], vcc
	v_addc_co_u32_e32 v5, vcc, 0, v5, vcc
	v_cmp_gt_i32_e32 vcc, 31, v7
	v_cndmask_b32_e32 v5, v6, v5, vcc
	v_cmp_ne_u32_e32 vcc, 0, v1
	v_cndmask_b32_e64 v1, 0, 1, vcc
	v_lshl_or_b32 v1, v1, 9, v6
	v_cmp_eq_u32_e32 vcc, s16, v7
	v_cndmask_b32_e32 v1, v5, v1, vcc
	v_lshrrev_b32_e32 v5, 16, v8
	v_and_or_b32 v1, v5, s17, v1
	v_and_b32_e32 v0, 0xffff, v0
	v_lshl_or_b32 v5, v1, 16, v0
	v_add_co_u32_e32 v0, vcc, s10, v3
	v_addc_co_u32_e32 v1, vcc, v4, v2, vcc
	global_store_dword v[0:1], v5, off
	s_and_b64 exec, exec, s[0:1]
	s_cbranch_execz .LBB0_25
; %bb.24:
	global_load_dword v7, v[25:26], off offset:1920
	v_add_co_u32_e32 v2, vcc, s18, v25
	v_addc_co_u32_e32 v3, vcc, 0, v26, vcc
	global_load_dword v9, v[2:3], off offset:224
	ds_read_b32 v8, v36 offset:1920
	ds_read_b32 v10, v36 offset:4320
	;; [unrolled: 1-line block ×4, first 2 shown]
	s_movk_i32 s0, 0x2000
	v_add_co_u32_e32 v4, vcc, s0, v25
	v_addc_co_u32_e32 v5, vcc, 0, v26, vcc
	global_load_dword v13, v[2:3], off offset:2624
	global_load_dword v14, v[4:5], off offset:928
	s_waitcnt lgkmcnt(3)
	v_lshrrev_b32_e32 v2, 16, v8
	s_waitcnt lgkmcnt(2)
	v_lshrrev_b32_e32 v15, 16, v10
	v_mov_b32_e32 v16, s5
	v_add_co_u32_e32 v0, vcc, s4, v0
	v_addc_co_u32_e32 v1, vcc, v1, v16, vcc
	s_waitcnt vmcnt(3)
	v_mul_f16_sdwa v3, v2, v7 dst_sel:DWORD dst_unused:UNUSED_PAD src0_sel:DWORD src1_sel:WORD_1
	v_mul_f16_sdwa v4, v8, v7 dst_sel:DWORD dst_unused:UNUSED_PAD src0_sel:DWORD src1_sel:WORD_1
	v_fma_f16 v3, v8, v7, v3
	v_fma_f16 v2, v7, v2, -v4
	v_cvt_f32_f16_e32 v3, v3
	s_waitcnt vmcnt(2)
	v_mul_f16_sdwa v4, v15, v9 dst_sel:DWORD dst_unused:UNUSED_PAD src0_sel:DWORD src1_sel:WORD_1
	v_cvt_f32_f16_e32 v5, v2
	v_fma_f16 v4, v10, v9, v4
	v_cvt_f32_f16_e32 v7, v4
	v_cvt_f64_f32_e32 v[2:3], v3
	v_cvt_f64_f32_e32 v[4:5], v5
	;; [unrolled: 1-line block ×3, first 2 shown]
	v_mul_f64 v[2:3], v[2:3], s[6:7]
	v_mul_f64 v[4:5], v[4:5], s[6:7]
	;; [unrolled: 1-line block ×3, first 2 shown]
	v_and_or_b32 v2, v3, s14, v2
	v_and_or_b32 v4, v5, s14, v4
	v_cmp_ne_u32_e32 vcc, 0, v2
	v_lshrrev_b32_e32 v16, 8, v3
	v_bfe_u32 v17, v3, 20, 11
	v_cndmask_b32_e64 v2, 0, 1, vcc
	v_cmp_ne_u32_e32 vcc, 0, v4
	v_and_or_b32 v7, v8, s14, v7
	v_lshrrev_b32_e32 v18, 8, v5
	v_bfe_u32 v19, v5, 20, 11
	v_sub_u32_e32 v20, 0x3f1, v17
	v_cndmask_b32_e64 v4, 0, 1, vcc
	v_and_or_b32 v2, v16, s15, v2
	v_cmp_ne_u32_e32 vcc, 0, v7
	v_sub_u32_e32 v21, 0x3f1, v19
	v_lshrrev_b32_e32 v22, 8, v8
	v_med3_i32 v16, v20, 0, 13
	v_and_or_b32 v4, v18, s15, v4
	v_cndmask_b32_e64 v7, 0, 1, vcc
	v_or_b32_e32 v20, 0x1000, v2
	v_add_u32_e32 v17, 0xfffffc10, v17
	v_med3_i32 v18, v21, 0, 13
	v_cmp_ne_u32_e32 vcc, 0, v2
	v_or_b32_e32 v23, 0x1000, v4
	v_and_or_b32 v7, v22, s15, v7
	v_lshrrev_b32_e32 v22, v16, v20
	v_add_u32_e32 v19, 0xfffffc10, v19
	v_lshl_or_b32 v21, v17, 12, v2
	v_cndmask_b32_e64 v2, 0, 1, vcc
	v_cmp_ne_u32_e32 vcc, 0, v4
	v_lshrrev_b32_e32 v25, v18, v23
	v_lshlrev_b32_e32 v16, v16, v22
	v_lshl_or_b32 v24, v19, 12, v4
	v_cndmask_b32_e64 v4, 0, 1, vcc
	v_lshlrev_b32_e32 v18, v18, v25
	v_cmp_ne_u32_e32 vcc, v16, v20
	v_cndmask_b32_e64 v16, 0, 1, vcc
	v_cmp_ne_u32_e32 vcc, v18, v23
	v_cndmask_b32_e64 v18, 0, 1, vcc
	v_or_b32_e32 v16, v22, v16
	v_cmp_gt_i32_e32 vcc, 1, v17
	v_cndmask_b32_e32 v16, v21, v16, vcc
	v_or_b32_e32 v18, v25, v18
	v_cmp_gt_i32_e32 vcc, 1, v19
	v_and_b32_e32 v20, 7, v16
	v_cndmask_b32_e32 v18, v24, v18, vcc
	v_cmp_lt_i32_e32 vcc, 5, v20
	v_cmp_eq_u32_e64 s[0:1], 3, v20
	v_lshrrev_b32_e32 v16, 2, v16
	v_and_b32_e32 v21, 7, v18
	s_or_b64 vcc, s[0:1], vcc
	v_cmp_lt_i32_e64 s[2:3], 5, v21
	v_cmp_eq_u32_e64 s[4:5], 3, v21
	v_addc_co_u32_e32 v16, vcc, 0, v16, vcc
	v_lshrrev_b32_e32 v18, 2, v18
	s_or_b64 vcc, s[4:5], s[2:3]
	v_addc_co_u32_e32 v18, vcc, 0, v18, vcc
	v_cmp_gt_i32_e32 vcc, 31, v17
	v_cndmask_b32_e32 v16, v6, v16, vcc
	v_cmp_gt_i32_e32 vcc, 31, v19
	v_lshl_or_b32 v2, v2, 9, v6
	v_cndmask_b32_e32 v18, v6, v18, vcc
	v_cmp_eq_u32_e32 vcc, s16, v17
	v_lshrrev_b32_e32 v3, 16, v3
	v_lshl_or_b32 v4, v4, 9, v6
	v_cndmask_b32_e32 v2, v16, v2, vcc
	v_cmp_eq_u32_e32 vcc, s16, v19
	v_lshrrev_b32_e32 v5, 16, v5
	v_cndmask_b32_e32 v4, v18, v4, vcc
	v_and_or_b32 v2, v3, s17, v2
	v_and_or_b32 v3, v5, s17, v4
	v_and_b32_e32 v2, 0xffff, v2
	v_lshl_or_b32 v2, v3, 16, v2
	global_store_dword v[0:1], v2, off
	v_bfe_u32 v2, v8, 20, 11
	v_sub_u32_e32 v3, 0x3f1, v2
	v_or_b32_e32 v26, 0x1000, v7
	v_med3_i32 v3, v3, 0, 13
	v_lshrrev_b32_e32 v4, v3, v26
	v_lshlrev_b32_e32 v3, v3, v4
	v_cmp_ne_u32_e32 vcc, v3, v26
	v_mul_f16_sdwa v5, v10, v9 dst_sel:DWORD dst_unused:UNUSED_PAD src0_sel:DWORD src1_sel:WORD_1
	v_cndmask_b32_e64 v3, 0, 1, vcc
	v_fma_f16 v5, v9, v15, -v5
	v_or_b32_e32 v3, v4, v3
	v_add_u32_e32 v4, 0xfffffc10, v2
	v_cvt_f32_f16_e32 v5, v5
	v_lshl_or_b32 v2, v4, 12, v7
	v_cmp_gt_i32_e32 vcc, 1, v4
	v_cndmask_b32_e32 v2, v2, v3, vcc
	v_and_b32_e32 v3, 7, v2
	v_cmp_lt_i32_e32 vcc, 5, v3
	v_cmp_eq_u32_e64 s[0:1], 3, v3
	v_lshrrev_b32_e32 v9, 2, v2
	v_cvt_f64_f32_e32 v[2:3], v5
	s_or_b64 vcc, s[0:1], vcc
	v_addc_co_u32_e32 v5, vcc, 0, v9, vcc
	v_mul_f64 v[2:3], v[2:3], s[6:7]
	v_cmp_gt_i32_e32 vcc, 31, v4
	v_cndmask_b32_e32 v5, v6, v5, vcc
	v_cmp_ne_u32_e32 vcc, 0, v7
	v_cndmask_b32_e64 v7, 0, 1, vcc
	v_lshl_or_b32 v7, v7, 9, v6
	v_cmp_eq_u32_e32 vcc, s16, v4
	v_cndmask_b32_e32 v4, v5, v7, vcc
	v_and_or_b32 v2, v3, s14, v2
	v_lshrrev_b32_e32 v5, 16, v8
	v_cmp_ne_u32_e32 vcc, 0, v2
	v_and_or_b32 v7, v5, s17, v4
	v_cndmask_b32_e64 v2, 0, 1, vcc
	v_lshrrev_b32_e32 v4, 8, v3
	v_bfe_u32 v5, v3, 20, 11
	v_and_or_b32 v2, v4, s15, v2
	v_sub_u32_e32 v8, 0x3f1, v5
	v_or_b32_e32 v4, 0x1000, v2
	v_med3_i32 v8, v8, 0, 13
	v_lshrrev_b32_e32 v9, v8, v4
	v_lshlrev_b32_e32 v8, v8, v9
	v_cmp_ne_u32_e32 vcc, v8, v4
	v_cndmask_b32_e64 v4, 0, 1, vcc
	v_add_u32_e32 v5, 0xfffffc10, v5
	v_or_b32_e32 v4, v9, v4
	v_lshl_or_b32 v8, v5, 12, v2
	v_cmp_gt_i32_e32 vcc, 1, v5
	v_cndmask_b32_e32 v4, v8, v4, vcc
	v_and_b32_e32 v8, 7, v4
	v_cmp_lt_i32_e32 vcc, 5, v8
	v_cmp_eq_u32_e64 s[0:1], 3, v8
	s_waitcnt lgkmcnt(1)
	v_lshrrev_b32_e32 v8, 16, v11
	v_lshrrev_b32_e32 v4, 2, v4
	s_or_b64 vcc, s[0:1], vcc
	s_waitcnt vmcnt(2)
	v_mul_f16_sdwa v9, v8, v13 dst_sel:DWORD dst_unused:UNUSED_PAD src0_sel:DWORD src1_sel:WORD_1
	v_addc_co_u32_e32 v4, vcc, 0, v4, vcc
	v_fma_f16 v9, v11, v13, v9
	v_cmp_gt_i32_e32 vcc, 31, v5
	v_cvt_f32_f16_e32 v9, v9
	v_cndmask_b32_e32 v4, v6, v4, vcc
	v_cmp_ne_u32_e32 vcc, 0, v2
	v_cndmask_b32_e64 v2, 0, 1, vcc
	v_lshl_or_b32 v2, v2, 9, v6
	v_cmp_eq_u32_e32 vcc, s16, v5
	v_cndmask_b32_e32 v2, v4, v2, vcc
	v_cvt_f64_f32_e32 v[4:5], v9
	v_lshrrev_b32_e32 v3, 16, v3
	v_and_or_b32 v9, v3, s17, v2
	v_and_b32_e32 v7, 0xffff, v7
	v_mul_f64 v[2:3], v[4:5], s[6:7]
	v_lshl_or_b32 v4, v9, 16, v7
	v_mov_b32_e32 v7, s11
	v_add_co_u32_e32 v0, vcc, s10, v0
	v_addc_co_u32_e32 v1, vcc, v1, v7, vcc
	global_store_dword v[0:1], v4, off
	v_and_or_b32 v2, v3, s14, v2
	v_cmp_ne_u32_e32 vcc, 0, v2
	v_cndmask_b32_e64 v2, 0, 1, vcc
	v_lshrrev_b32_e32 v4, 8, v3
	v_bfe_u32 v5, v3, 20, 11
	v_and_or_b32 v2, v4, s15, v2
	v_sub_u32_e32 v9, 0x3f1, v5
	v_or_b32_e32 v4, 0x1000, v2
	v_med3_i32 v9, v9, 0, 13
	v_lshrrev_b32_e32 v10, v9, v4
	v_lshlrev_b32_e32 v9, v9, v10
	v_cmp_ne_u32_e32 vcc, v9, v4
	v_cndmask_b32_e64 v4, 0, 1, vcc
	v_or_b32_e32 v4, v10, v4
	v_mul_f16_sdwa v10, v11, v13 dst_sel:DWORD dst_unused:UNUSED_PAD src0_sel:DWORD src1_sel:WORD_1
	v_fma_f16 v8, v13, v8, -v10
	v_add_u32_e32 v9, 0xfffffc10, v5
	v_cvt_f32_f16_e32 v8, v8
	v_lshl_or_b32 v5, v9, 12, v2
	v_cmp_gt_i32_e32 vcc, 1, v9
	v_cndmask_b32_e32 v4, v5, v4, vcc
	v_and_b32_e32 v5, 7, v4
	v_cmp_lt_i32_e32 vcc, 5, v5
	v_cmp_eq_u32_e64 s[0:1], 3, v5
	v_lshrrev_b32_e32 v10, 2, v4
	v_cvt_f64_f32_e32 v[4:5], v8
	s_or_b64 vcc, s[0:1], vcc
	v_addc_co_u32_e32 v8, vcc, 0, v10, vcc
	v_mul_f64 v[4:5], v[4:5], s[6:7]
	v_cmp_gt_i32_e32 vcc, 31, v9
	v_cndmask_b32_e32 v8, v6, v8, vcc
	v_cmp_ne_u32_e32 vcc, 0, v2
	v_cndmask_b32_e64 v2, 0, 1, vcc
	v_lshl_or_b32 v2, v2, 9, v6
	v_cmp_eq_u32_e32 vcc, s16, v9
	v_cndmask_b32_e32 v2, v8, v2, vcc
	v_lshrrev_b32_e32 v3, 16, v3
	v_and_or_b32 v8, v3, s17, v2
	v_and_or_b32 v2, v5, s14, v4
	v_cmp_ne_u32_e32 vcc, 0, v2
	v_cndmask_b32_e64 v2, 0, 1, vcc
	v_lshrrev_b32_e32 v3, 8, v5
	v_bfe_u32 v4, v5, 20, 11
	v_and_or_b32 v2, v3, s15, v2
	v_sub_u32_e32 v9, 0x3f1, v4
	v_or_b32_e32 v3, 0x1000, v2
	v_med3_i32 v9, v9, 0, 13
	v_lshrrev_b32_e32 v10, v9, v3
	v_lshlrev_b32_e32 v9, v9, v10
	v_cmp_ne_u32_e32 vcc, v9, v3
	v_cndmask_b32_e64 v3, 0, 1, vcc
	v_add_u32_e32 v4, 0xfffffc10, v4
	v_or_b32_e32 v3, v10, v3
	v_lshl_or_b32 v9, v4, 12, v2
	v_cmp_gt_i32_e32 vcc, 1, v4
	v_cndmask_b32_e32 v3, v9, v3, vcc
	v_and_b32_e32 v9, 7, v3
	v_cmp_lt_i32_e32 vcc, 5, v9
	v_cmp_eq_u32_e64 s[0:1], 3, v9
	v_lshrrev_b32_e32 v3, 2, v3
	s_or_b64 vcc, s[0:1], vcc
	v_addc_co_u32_e32 v3, vcc, 0, v3, vcc
	v_cmp_gt_i32_e32 vcc, 31, v4
	s_waitcnt lgkmcnt(0)
	v_lshrrev_b32_e32 v10, 16, v12
	v_cndmask_b32_e32 v9, v6, v3, vcc
	s_waitcnt vmcnt(2)
	v_mul_f16_sdwa v3, v10, v14 dst_sel:DWORD dst_unused:UNUSED_PAD src0_sel:DWORD src1_sel:WORD_1
	v_fma_f16 v3, v12, v14, v3
	v_cvt_f32_f16_e32 v3, v3
	v_cmp_ne_u32_e32 vcc, 0, v2
	v_cndmask_b32_e64 v2, 0, 1, vcc
	v_lshl_or_b32 v11, v2, 9, v6
	v_cvt_f64_f32_e32 v[2:3], v3
	v_cmp_eq_u32_e32 vcc, s16, v4
	v_cndmask_b32_e32 v4, v9, v11, vcc
	v_lshrrev_b32_e32 v5, 16, v5
	v_mul_f64 v[2:3], v[2:3], s[6:7]
	v_add_co_u32_e32 v0, vcc, s10, v0
	v_and_or_b32 v4, v5, s17, v4
	v_and_b32_e32 v5, 0xffff, v8
	v_addc_co_u32_e32 v1, vcc, v1, v7, vcc
	v_lshl_or_b32 v4, v4, 16, v5
	v_and_or_b32 v2, v3, s14, v2
	v_cmp_ne_u32_e32 vcc, 0, v2
	global_store_dword v[0:1], v4, off
	v_cndmask_b32_e64 v2, 0, 1, vcc
	v_lshrrev_b32_e32 v4, 8, v3
	v_bfe_u32 v5, v3, 20, 11
	v_and_or_b32 v2, v4, s15, v2
	v_sub_u32_e32 v8, 0x3f1, v5
	v_or_b32_e32 v4, 0x1000, v2
	v_med3_i32 v8, v8, 0, 13
	v_lshrrev_b32_e32 v9, v8, v4
	v_lshlrev_b32_e32 v8, v8, v9
	v_cmp_ne_u32_e32 vcc, v8, v4
	v_cndmask_b32_e64 v4, 0, 1, vcc
	v_or_b32_e32 v4, v9, v4
	v_mul_f16_sdwa v9, v12, v14 dst_sel:DWORD dst_unused:UNUSED_PAD src0_sel:DWORD src1_sel:WORD_1
	v_fma_f16 v9, v14, v10, -v9
	v_add_u32_e32 v8, 0xfffffc10, v5
	v_cvt_f32_f16_e32 v9, v9
	v_lshl_or_b32 v5, v8, 12, v2
	v_cmp_gt_i32_e32 vcc, 1, v8
	v_cndmask_b32_e32 v4, v5, v4, vcc
	v_and_b32_e32 v5, 7, v4
	v_cmp_lt_i32_e32 vcc, 5, v5
	v_cmp_eq_u32_e64 s[0:1], 3, v5
	v_lshrrev_b32_e32 v10, 2, v4
	v_cvt_f64_f32_e32 v[4:5], v9
	s_or_b64 vcc, s[0:1], vcc
	v_addc_co_u32_e32 v9, vcc, 0, v10, vcc
	v_mul_f64 v[4:5], v[4:5], s[6:7]
	v_cmp_gt_i32_e32 vcc, 31, v8
	v_cndmask_b32_e32 v9, v6, v9, vcc
	v_cmp_ne_u32_e32 vcc, 0, v2
	v_cndmask_b32_e64 v2, 0, 1, vcc
	v_lshl_or_b32 v2, v2, 9, v6
	v_cmp_eq_u32_e32 vcc, s16, v8
	v_cndmask_b32_e32 v2, v9, v2, vcc
	v_lshrrev_b32_e32 v3, 16, v3
	v_and_or_b32 v2, v3, s17, v2
	v_and_or_b32 v3, v5, s14, v4
	v_cmp_ne_u32_e32 vcc, 0, v3
	v_cndmask_b32_e64 v3, 0, 1, vcc
	v_lshrrev_b32_e32 v4, 8, v5
	v_bfe_u32 v8, v5, 20, 11
	v_and_or_b32 v3, v4, s15, v3
	v_sub_u32_e32 v9, 0x3f1, v8
	v_or_b32_e32 v4, 0x1000, v3
	v_med3_i32 v9, v9, 0, 13
	v_lshrrev_b32_e32 v10, v9, v4
	v_lshlrev_b32_e32 v9, v9, v10
	v_cmp_ne_u32_e32 vcc, v9, v4
	v_cndmask_b32_e64 v4, 0, 1, vcc
	v_add_u32_e32 v8, 0xfffffc10, v8
	v_or_b32_e32 v4, v10, v4
	v_lshl_or_b32 v9, v8, 12, v3
	v_cmp_gt_i32_e32 vcc, 1, v8
	v_cndmask_b32_e32 v4, v9, v4, vcc
	v_and_b32_e32 v9, 7, v4
	v_cmp_lt_i32_e32 vcc, 5, v9
	v_cmp_eq_u32_e64 s[0:1], 3, v9
	v_lshrrev_b32_e32 v4, 2, v4
	s_or_b64 vcc, s[0:1], vcc
	v_addc_co_u32_e32 v4, vcc, 0, v4, vcc
	v_cmp_gt_i32_e32 vcc, 31, v8
	v_cndmask_b32_e32 v4, v6, v4, vcc
	v_cmp_ne_u32_e32 vcc, 0, v3
	v_cndmask_b32_e64 v3, 0, 1, vcc
	v_lshl_or_b32 v3, v3, 9, v6
	v_cmp_eq_u32_e32 vcc, s16, v8
	v_cndmask_b32_e32 v3, v4, v3, vcc
	v_lshrrev_b32_e32 v4, 16, v5
	v_and_or_b32 v3, v4, s17, v3
	v_and_b32_e32 v2, 0xffff, v2
	v_add_co_u32_e32 v0, vcc, s10, v0
	v_lshl_or_b32 v2, v3, 16, v2
	v_addc_co_u32_e32 v1, vcc, v1, v7, vcc
	global_store_dword v[0:1], v2, off
.LBB0_25:
	s_endpgm
	.section	.rodata,"a",@progbits
	.p2align	6, 0x0
	.amdhsa_kernel bluestein_single_fwd_len2400_dim1_half_op_CI_CI
		.amdhsa_group_segment_fixed_size 9600
		.amdhsa_private_segment_fixed_size 0
		.amdhsa_kernarg_size 104
		.amdhsa_user_sgpr_count 6
		.amdhsa_user_sgpr_private_segment_buffer 1
		.amdhsa_user_sgpr_dispatch_ptr 0
		.amdhsa_user_sgpr_queue_ptr 0
		.amdhsa_user_sgpr_kernarg_segment_ptr 1
		.amdhsa_user_sgpr_dispatch_id 0
		.amdhsa_user_sgpr_flat_scratch_init 0
		.amdhsa_user_sgpr_private_segment_size 0
		.amdhsa_uses_dynamic_stack 0
		.amdhsa_system_sgpr_private_segment_wavefront_offset 0
		.amdhsa_system_sgpr_workgroup_id_x 1
		.amdhsa_system_sgpr_workgroup_id_y 0
		.amdhsa_system_sgpr_workgroup_id_z 0
		.amdhsa_system_sgpr_workgroup_info 0
		.amdhsa_system_vgpr_workitem_id 0
		.amdhsa_next_free_vgpr 76
		.amdhsa_next_free_sgpr 22
		.amdhsa_reserve_vcc 1
		.amdhsa_reserve_flat_scratch 0
		.amdhsa_float_round_mode_32 0
		.amdhsa_float_round_mode_16_64 0
		.amdhsa_float_denorm_mode_32 3
		.amdhsa_float_denorm_mode_16_64 3
		.amdhsa_dx10_clamp 1
		.amdhsa_ieee_mode 1
		.amdhsa_fp16_overflow 0
		.amdhsa_exception_fp_ieee_invalid_op 0
		.amdhsa_exception_fp_denorm_src 0
		.amdhsa_exception_fp_ieee_div_zero 0
		.amdhsa_exception_fp_ieee_overflow 0
		.amdhsa_exception_fp_ieee_underflow 0
		.amdhsa_exception_fp_ieee_inexact 0
		.amdhsa_exception_int_div_zero 0
	.end_amdhsa_kernel
	.text
.Lfunc_end0:
	.size	bluestein_single_fwd_len2400_dim1_half_op_CI_CI, .Lfunc_end0-bluestein_single_fwd_len2400_dim1_half_op_CI_CI
                                        ; -- End function
	.section	.AMDGPU.csdata,"",@progbits
; Kernel info:
; codeLenInByte = 17964
; NumSgprs: 26
; NumVgprs: 76
; ScratchSize: 0
; MemoryBound: 0
; FloatMode: 240
; IeeeMode: 1
; LDSByteSize: 9600 bytes/workgroup (compile time only)
; SGPRBlocks: 3
; VGPRBlocks: 18
; NumSGPRsForWavesPerEU: 26
; NumVGPRsForWavesPerEU: 76
; Occupancy: 3
; WaveLimiterHint : 1
; COMPUTE_PGM_RSRC2:SCRATCH_EN: 0
; COMPUTE_PGM_RSRC2:USER_SGPR: 6
; COMPUTE_PGM_RSRC2:TRAP_HANDLER: 0
; COMPUTE_PGM_RSRC2:TGID_X_EN: 1
; COMPUTE_PGM_RSRC2:TGID_Y_EN: 0
; COMPUTE_PGM_RSRC2:TGID_Z_EN: 0
; COMPUTE_PGM_RSRC2:TIDIG_COMP_CNT: 0
	.type	__hip_cuid_c2d33d3997920d21,@object ; @__hip_cuid_c2d33d3997920d21
	.section	.bss,"aw",@nobits
	.globl	__hip_cuid_c2d33d3997920d21
__hip_cuid_c2d33d3997920d21:
	.byte	0                               ; 0x0
	.size	__hip_cuid_c2d33d3997920d21, 1

	.ident	"AMD clang version 19.0.0git (https://github.com/RadeonOpenCompute/llvm-project roc-6.4.0 25133 c7fe45cf4b819c5991fe208aaa96edf142730f1d)"
	.section	".note.GNU-stack","",@progbits
	.addrsig
	.addrsig_sym __hip_cuid_c2d33d3997920d21
	.amdgpu_metadata
---
amdhsa.kernels:
  - .args:
      - .actual_access:  read_only
        .address_space:  global
        .offset:         0
        .size:           8
        .value_kind:     global_buffer
      - .actual_access:  read_only
        .address_space:  global
        .offset:         8
        .size:           8
        .value_kind:     global_buffer
      - .actual_access:  read_only
        .address_space:  global
        .offset:         16
        .size:           8
        .value_kind:     global_buffer
      - .actual_access:  read_only
        .address_space:  global
        .offset:         24
        .size:           8
        .value_kind:     global_buffer
      - .actual_access:  read_only
        .address_space:  global
        .offset:         32
        .size:           8
        .value_kind:     global_buffer
      - .offset:         40
        .size:           8
        .value_kind:     by_value
      - .address_space:  global
        .offset:         48
        .size:           8
        .value_kind:     global_buffer
      - .address_space:  global
        .offset:         56
        .size:           8
        .value_kind:     global_buffer
      - .address_space:  global
        .offset:         64
        .size:           8
        .value_kind:     global_buffer
      - .address_space:  global
        .offset:         72
        .size:           8
        .value_kind:     global_buffer
      - .offset:         80
        .size:           4
        .value_kind:     by_value
      - .address_space:  global
        .offset:         88
        .size:           8
        .value_kind:     global_buffer
      - .address_space:  global
        .offset:         96
        .size:           8
        .value_kind:     global_buffer
    .group_segment_fixed_size: 9600
    .kernarg_segment_align: 8
    .kernarg_segment_size: 104
    .language:       OpenCL C
    .language_version:
      - 2
      - 0
    .max_flat_workgroup_size: 240
    .name:           bluestein_single_fwd_len2400_dim1_half_op_CI_CI
    .private_segment_fixed_size: 0
    .sgpr_count:     26
    .sgpr_spill_count: 0
    .symbol:         bluestein_single_fwd_len2400_dim1_half_op_CI_CI.kd
    .uniform_work_group_size: 1
    .uses_dynamic_stack: false
    .vgpr_count:     76
    .vgpr_spill_count: 0
    .wavefront_size: 64
amdhsa.target:   amdgcn-amd-amdhsa--gfx906
amdhsa.version:
  - 1
  - 2
...

	.end_amdgpu_metadata
